;; amdgpu-corpus repo=ROCm/rocFFT kind=compiled arch=gfx1201 opt=O3
	.text
	.amdgcn_target "amdgcn-amd-amdhsa--gfx1201"
	.amdhsa_code_object_version 6
	.protected	fft_rtc_back_len121_factors_11_11_wgs_121_tpt_11_sp_op_CI_CI_sbcc_twdbase6_3step_dirReg ; -- Begin function fft_rtc_back_len121_factors_11_11_wgs_121_tpt_11_sp_op_CI_CI_sbcc_twdbase6_3step_dirReg
	.globl	fft_rtc_back_len121_factors_11_11_wgs_121_tpt_11_sp_op_CI_CI_sbcc_twdbase6_3step_dirReg
	.p2align	8
	.type	fft_rtc_back_len121_factors_11_11_wgs_121_tpt_11_sp_op_CI_CI_sbcc_twdbase6_3step_dirReg,@function
fft_rtc_back_len121_factors_11_11_wgs_121_tpt_11_sp_op_CI_CI_sbcc_twdbase6_3step_dirReg: ; @fft_rtc_back_len121_factors_11_11_wgs_121_tpt_11_sp_op_CI_CI_sbcc_twdbase6_3step_dirReg
; %bb.0:
	s_clause 0x2
	s_load_b64 s[22:23], s[0:1], 0x0
	s_load_b256 s[4:11], s[0:1], 0x8
	s_load_b64 s[24:25], s[0:1], 0x28
	s_mov_b32 s3, exec_lo
	v_cmpx_gt_u32_e32 0xc0, v0
	s_cbranch_execz .LBB0_3
; %bb.1:
	v_lshlrev_b32_e32 v5, 3, v0
	v_add_co_u32 v1, s2, 0xffffff87, v0
	s_delay_alu instid0(VALU_DEP_1) | instskip(SKIP_1) | instid1(VALU_DEP_3)
	v_add_co_ci_u32_e64 v2, null, 0, -1, s2
	s_wait_kmcnt 0x0
	v_add_co_u32 v3, s2, s4, v5
	s_wait_alu 0xf1ff
	v_add_co_ci_u32_e64 v4, null, s5, 0, s2
	v_add3_u32 v5, v5, 0, 0x2998
	s_mov_b32 s4, 0
.LBB0_2:                                ; =>This Inner Loop Header: Depth=1
	global_load_b64 v[6:7], v[3:4], off
	v_add_co_u32 v1, vcc_lo, 0x79, v1
	s_wait_alu 0xfffd
	v_add_co_ci_u32_e32 v2, vcc_lo, 0, v2, vcc_lo
	v_add_co_u32 v3, vcc_lo, 0x3c8, v3
	s_wait_alu 0xfffd
	v_add_co_ci_u32_e32 v4, vcc_lo, 0, v4, vcc_lo
	s_delay_alu instid0(VALU_DEP_3) | instskip(SKIP_1) | instid1(VALU_DEP_1)
	v_cmp_lt_u64_e64 s2, 0x46, v[1:2]
	s_wait_alu 0xfffe
	s_or_b32 s4, s2, s4
	s_wait_loadcnt 0x0
	ds_store_b64 v5, v[6:7]
	v_add_nc_u32_e32 v5, 0x3c8, v5
	s_wait_alu 0xfffe
	s_and_not1_b32 exec_lo, exec_lo, s4
	s_cbranch_execnz .LBB0_2
.LBB0_3:
	s_or_b32 exec_lo, exec_lo, s3
	s_mov_b32 s29, 0
	s_load_b128 s[12:15], s[0:1], 0x60
	s_mov_b32 s0, 0x5d161400
	s_movk_i32 s1, 0x54
	s_mov_b32 s28, s29
	s_wait_kmcnt 0x0
	s_load_b64 s[26:27], s[8:9], 0x8
	s_add_nc_u64 s[0:1], s[28:29], s[0:1]
	s_mov_b64 s[20:21], 0
	s_add_co_i32 s1, s1, 0x1745d120
	s_delay_alu instid0(SALU_CYCLE_1)
	s_mul_u64 s[2:3], s[0:1], -11
	s_wait_alu 0xfffe
	s_mul_hi_u32 s5, s0, s3
	s_mul_i32 s4, s0, s3
	s_mul_hi_u32 s28, s0, s2
	s_mul_hi_u32 s16, s1, s2
	s_mul_i32 s2, s1, s2
	s_wait_alu 0xfffe
	s_add_nc_u64 s[4:5], s[28:29], s[4:5]
	s_mul_hi_u32 s17, s1, s3
	s_wait_alu 0xfffe
	s_add_co_u32 s2, s4, s2
	s_add_co_ci_u32 s28, s5, s16
	s_add_co_ci_u32 s5, s17, 0
	s_mul_i32 s4, s1, s3
	s_wait_alu 0xfffe
	s_add_nc_u64 s[2:3], s[28:29], s[4:5]
	s_wait_kmcnt 0x0
	s_add_nc_u64 s[4:5], s[26:27], -1
	s_wait_alu 0xfffe
	v_add_co_u32 v1, s0, s0, s2
	s_delay_alu instid0(VALU_DEP_1) | instskip(SKIP_1) | instid1(VALU_DEP_1)
	s_cmp_lg_u32 s0, 0
	s_add_co_ci_u32 s2, s1, s3
	v_readfirstlane_b32 s3, v1
	s_wait_alu 0xfffe
	s_mul_hi_u32 s1, s4, s2
	s_mul_i32 s0, s4, s2
	s_mul_hi_u32 s16, s5, s2
	s_mul_i32 s2, s5, s2
	s_mul_hi_u32 s28, s4, s3
	s_mul_i32 s17, s5, s3
	s_wait_alu 0xfffe
	s_add_nc_u64 s[0:1], s[28:29], s[0:1]
	s_mul_hi_u32 s3, s5, s3
	s_wait_alu 0xfffe
	s_add_co_u32 s0, s0, s17
	s_add_co_ci_u32 s28, s1, s3
	s_add_co_ci_u32 s3, s16, 0
	s_wait_alu 0xfffe
	s_add_nc_u64 s[0:1], s[28:29], s[2:3]
	s_wait_alu 0xfffe
	s_mov_b32 s28, ttmp9
	s_mul_u64 s[2:3], s[0:1], 11
	s_wait_alu 0xfffe
	v_sub_co_u32 v1, s2, s4, s2
	s_delay_alu instid0(VALU_DEP_1) | instskip(SKIP_1) | instid1(VALU_DEP_1)
	s_cmp_lg_u32 s2, 0
	s_sub_co_ci_u32 s16, s5, s3
	v_sub_co_u32 v2, s4, v1, 11
	s_delay_alu instid0(VALU_DEP_1) | instskip(SKIP_2) | instid1(VALU_DEP_2)
	s_cmp_lg_u32 s4, 0
	v_readfirstlane_b32 s18, v1
	s_sub_co_ci_u32 s4, s16, 0
	v_readfirstlane_b32 s2, v2
	s_delay_alu instid0(VALU_DEP_1)
	s_cmp_gt_u32 s2, 10
	s_add_nc_u64 s[2:3], s[0:1], 1
	s_cselect_b32 s17, -1, 0
	s_wait_alu 0xfffe
	s_cmp_eq_u32 s4, 0
	s_add_nc_u64 s[4:5], s[0:1], 2
	s_cselect_b32 s17, s17, -1
	s_delay_alu instid0(SALU_CYCLE_1)
	s_cmp_lg_u32 s17, 0
	s_wait_alu 0xfffe
	s_cselect_b32 s2, s4, s2
	s_cselect_b32 s3, s5, s3
	s_cmp_gt_u32 s18, 10
	s_cselect_b32 s4, -1, 0
	s_cmp_eq_u32 s16, 0
	s_wait_alu 0xfffe
	s_cselect_b32 s4, s4, -1
	s_wait_alu 0xfffe
	s_cmp_lg_u32 s4, 0
	s_cselect_b32 s1, s3, s1
	s_cselect_b32 s0, s2, s0
	s_wait_alu 0xfffe
	s_add_nc_u64 s[34:35], s[0:1], 1
	s_delay_alu instid0(SALU_CYCLE_1) | instskip(NEXT) | instid1(VALU_DEP_1)
	v_cmp_lt_u64_e64 s0, s[28:29], s[34:35]
	s_and_b32 vcc_lo, exec_lo, s0
	s_wait_alu 0xfffe
	s_cbranch_vccnz .LBB0_5
; %bb.4:
	v_cvt_f32_u32_e32 v1, s34
	s_sub_co_i32 s1, 0, s34
	s_mov_b32 s21, s29
	s_delay_alu instid0(VALU_DEP_1) | instskip(NEXT) | instid1(TRANS32_DEP_1)
	v_rcp_iflag_f32_e32 v1, v1
	v_mul_f32_e32 v1, 0x4f7ffffe, v1
	s_delay_alu instid0(VALU_DEP_1) | instskip(NEXT) | instid1(VALU_DEP_1)
	v_cvt_u32_f32_e32 v1, v1
	v_readfirstlane_b32 s0, v1
	s_wait_alu 0xfffe
	s_delay_alu instid0(VALU_DEP_1)
	s_mul_i32 s1, s1, s0
	s_wait_alu 0xfffe
	s_mul_hi_u32 s1, s0, s1
	s_wait_alu 0xfffe
	s_add_co_i32 s0, s0, s1
	s_wait_alu 0xfffe
	s_mul_hi_u32 s0, s28, s0
	s_wait_alu 0xfffe
	s_mul_i32 s1, s0, s34
	s_add_co_i32 s2, s0, 1
	s_wait_alu 0xfffe
	s_sub_co_i32 s1, s28, s1
	s_wait_alu 0xfffe
	s_sub_co_i32 s3, s1, s34
	s_cmp_ge_u32 s1, s34
	s_cselect_b32 s0, s2, s0
	s_wait_alu 0xfffe
	s_cselect_b32 s1, s3, s1
	s_add_co_i32 s2, s0, 1
	s_wait_alu 0xfffe
	s_cmp_ge_u32 s1, s34
	s_cselect_b32 s20, s2, s0
.LBB0_5:
	s_load_b128 s[16:19], s[10:11], 0x0
	s_load_b128 s[0:3], s[24:25], 0x0
	v_cmp_lt_u64_e64 s30, s[6:7], 3
	s_mul_u64 s[4:5], s[20:21], s[34:35]
	s_wait_alu 0xfffe
	s_sub_nc_u64 s[4:5], s[28:29], s[4:5]
	s_wait_alu 0xfffe
	s_mul_u64 s[36:37], s[4:5], 11
	s_and_b32 vcc_lo, exec_lo, s30
	s_wait_kmcnt 0x0
	s_mul_u64 s[30:31], s[18:19], s[36:37]
	s_mul_u64 s[4:5], s[2:3], s[36:37]
	s_wait_alu 0xfffe
	s_cbranch_vccnz .LBB0_15
; %bb.6:
	s_add_nc_u64 s[38:39], s[24:25], 16
	s_add_nc_u64 s[40:41], s[10:11], 16
	;; [unrolled: 1-line block ×3, first 2 shown]
	s_mov_b64 s[42:43], 2
	s_mov_b32 s44, 0
.LBB0_7:                                ; =>This Inner Loop Header: Depth=1
	s_load_b64 s[46:47], s[8:9], 0x0
                                        ; implicit-def: $sgpr50_sgpr51
	s_wait_kmcnt 0x0
	s_or_b64 s[48:49], s[20:21], s[46:47]
	s_delay_alu instid0(SALU_CYCLE_1)
	s_mov_b32 s45, s49
	s_mov_b32 s49, -1
	s_cmp_lg_u64 s[44:45], 0
	s_cbranch_scc0 .LBB0_9
; %bb.8:                                ;   in Loop: Header=BB0_7 Depth=1
	s_cvt_f32_u32 s33, s46
	s_cvt_f32_u32 s45, s47
	s_sub_nc_u64 s[52:53], 0, s[46:47]
	s_mov_b32 s49, 0
	s_mov_b32 s57, s44
	s_wait_alu 0xfffe
	s_fmamk_f32 s33, s45, 0x4f800000, s33
	s_wait_alu 0xfffe
	s_delay_alu instid0(SALU_CYCLE_2) | instskip(NEXT) | instid1(TRANS32_DEP_1)
	v_s_rcp_f32 s33, s33
	s_mul_f32 s33, s33, 0x5f7ffffc
	s_wait_alu 0xfffe
	s_delay_alu instid0(SALU_CYCLE_2) | instskip(NEXT) | instid1(SALU_CYCLE_3)
	s_mul_f32 s45, s33, 0x2f800000
	s_trunc_f32 s45, s45
	s_delay_alu instid0(SALU_CYCLE_3) | instskip(SKIP_2) | instid1(SALU_CYCLE_1)
	s_fmamk_f32 s33, s45, 0xcf800000, s33
	s_cvt_u32_f32 s51, s45
	s_wait_alu 0xfffe
	s_cvt_u32_f32 s50, s33
	s_wait_alu 0xfffe
	s_delay_alu instid0(SALU_CYCLE_2)
	s_mul_u64 s[54:55], s[52:53], s[50:51]
	s_wait_alu 0xfffe
	s_mul_hi_u32 s59, s50, s55
	s_mul_i32 s58, s50, s55
	s_mul_hi_u32 s48, s50, s54
	s_mul_i32 s45, s51, s54
	s_add_nc_u64 s[58:59], s[48:49], s[58:59]
	s_mul_hi_u32 s33, s51, s54
	s_mul_hi_u32 s60, s51, s55
	s_add_co_u32 s45, s58, s45
	s_wait_alu 0xfffe
	s_add_co_ci_u32 s56, s59, s33
	s_mul_i32 s54, s51, s55
	s_add_co_ci_u32 s55, s60, 0
	s_wait_alu 0xfffe
	s_add_nc_u64 s[54:55], s[56:57], s[54:55]
	s_wait_alu 0xfffe
	v_add_co_u32 v1, s33, s50, s54
	s_delay_alu instid0(VALU_DEP_1) | instskip(SKIP_1) | instid1(VALU_DEP_1)
	s_cmp_lg_u32 s33, 0
	s_add_co_ci_u32 s51, s51, s55
	v_readfirstlane_b32 s50, v1
	s_mov_b32 s55, s44
	s_wait_alu 0xfffe
	s_delay_alu instid0(VALU_DEP_1)
	s_mul_u64 s[52:53], s[52:53], s[50:51]
	s_wait_alu 0xfffe
	s_mul_hi_u32 s57, s50, s53
	s_mul_i32 s56, s50, s53
	s_mul_hi_u32 s48, s50, s52
	s_mul_i32 s45, s51, s52
	s_add_nc_u64 s[56:57], s[48:49], s[56:57]
	s_mul_hi_u32 s33, s51, s52
	s_mul_hi_u32 s50, s51, s53
	s_add_co_u32 s45, s56, s45
	s_wait_alu 0xfffe
	s_add_co_ci_u32 s54, s57, s33
	s_mul_i32 s52, s51, s53
	s_add_co_ci_u32 s53, s50, 0
	s_wait_alu 0xfffe
	s_add_nc_u64 s[52:53], s[54:55], s[52:53]
	s_wait_alu 0xfffe
	v_add_co_u32 v1, s33, v1, s52
	s_delay_alu instid0(VALU_DEP_1) | instskip(SKIP_1) | instid1(VALU_DEP_1)
	s_cmp_lg_u32 s33, 0
	s_add_co_ci_u32 s33, s51, s53
	v_readfirstlane_b32 s45, v1
	s_wait_alu 0xfffe
	s_mul_hi_u32 s51, s20, s33
	s_mul_i32 s50, s20, s33
	s_mul_hi_u32 s53, s21, s33
	s_mul_i32 s52, s21, s33
	s_mul_hi_u32 s48, s20, s45
	s_mul_i32 s33, s21, s45
	s_wait_alu 0xfffe
	s_add_nc_u64 s[50:51], s[48:49], s[50:51]
	s_mul_hi_u32 s45, s21, s45
	s_wait_alu 0xfffe
	s_add_co_u32 s33, s50, s33
	s_add_co_ci_u32 s54, s51, s45
	s_add_co_ci_u32 s53, s53, 0
	s_wait_alu 0xfffe
	s_add_nc_u64 s[50:51], s[54:55], s[52:53]
	s_wait_alu 0xfffe
	s_mul_u64 s[52:53], s[46:47], s[50:51]
	s_add_nc_u64 s[54:55], s[50:51], 1
	s_wait_alu 0xfffe
	v_sub_co_u32 v1, s33, s20, s52
	s_sub_co_i32 s45, s21, s53
	s_cmp_lg_u32 s33, 0
	s_add_nc_u64 s[56:57], s[50:51], 2
	s_delay_alu instid0(VALU_DEP_1) | instskip(SKIP_2) | instid1(VALU_DEP_1)
	v_sub_co_u32 v2, s48, v1, s46
	s_sub_co_ci_u32 s45, s45, s47
	s_cmp_lg_u32 s48, 0
	v_readfirstlane_b32 s48, v2
	s_sub_co_ci_u32 s45, s45, 0
	s_delay_alu instid0(SALU_CYCLE_1) | instskip(SKIP_1) | instid1(VALU_DEP_1)
	s_cmp_ge_u32 s45, s47
	s_cselect_b32 s52, -1, 0
	s_cmp_ge_u32 s48, s46
	s_cselect_b32 s48, -1, 0
	s_cmp_eq_u32 s45, s47
	s_wait_alu 0xfffe
	s_cselect_b32 s45, s48, s52
	s_delay_alu instid0(SALU_CYCLE_1)
	s_cmp_lg_u32 s45, 0
	s_cselect_b32 s45, s56, s54
	s_cselect_b32 s48, s57, s55
	s_cmp_lg_u32 s33, 0
	v_readfirstlane_b32 s33, v1
	s_sub_co_ci_u32 s52, s21, s53
	s_wait_alu 0xfffe
	s_cmp_ge_u32 s52, s47
	s_cselect_b32 s53, -1, 0
	s_cmp_ge_u32 s33, s46
	s_cselect_b32 s33, -1, 0
	s_cmp_eq_u32 s52, s47
	s_wait_alu 0xfffe
	s_cselect_b32 s33, s33, s53
	s_wait_alu 0xfffe
	s_cmp_lg_u32 s33, 0
	s_cselect_b32 s51, s48, s51
	s_cselect_b32 s50, s45, s50
.LBB0_9:                                ;   in Loop: Header=BB0_7 Depth=1
	s_and_not1_b32 vcc_lo, exec_lo, s49
	s_wait_alu 0xfffe
	s_cbranch_vccnz .LBB0_11
; %bb.10:                               ;   in Loop: Header=BB0_7 Depth=1
	v_cvt_f32_u32_e32 v1, s46
	s_sub_co_i32 s45, 0, s46
	s_mov_b32 s51, s44
	s_delay_alu instid0(VALU_DEP_1) | instskip(NEXT) | instid1(TRANS32_DEP_1)
	v_rcp_iflag_f32_e32 v1, v1
	v_mul_f32_e32 v1, 0x4f7ffffe, v1
	s_delay_alu instid0(VALU_DEP_1) | instskip(NEXT) | instid1(VALU_DEP_1)
	v_cvt_u32_f32_e32 v1, v1
	v_readfirstlane_b32 s33, v1
	s_delay_alu instid0(VALU_DEP_1) | instskip(NEXT) | instid1(SALU_CYCLE_1)
	s_mul_i32 s45, s45, s33
	s_mul_hi_u32 s45, s33, s45
	s_delay_alu instid0(SALU_CYCLE_1)
	s_add_co_i32 s33, s33, s45
	s_wait_alu 0xfffe
	s_mul_hi_u32 s33, s20, s33
	s_wait_alu 0xfffe
	s_mul_i32 s45, s33, s46
	s_add_co_i32 s48, s33, 1
	s_sub_co_i32 s45, s20, s45
	s_delay_alu instid0(SALU_CYCLE_1)
	s_sub_co_i32 s49, s45, s46
	s_cmp_ge_u32 s45, s46
	s_cselect_b32 s33, s48, s33
	s_cselect_b32 s45, s49, s45
	s_wait_alu 0xfffe
	s_add_co_i32 s48, s33, 1
	s_cmp_ge_u32 s45, s46
	s_cselect_b32 s50, s48, s33
.LBB0_11:                               ;   in Loop: Header=BB0_7 Depth=1
	s_load_b64 s[48:49], s[40:41], 0x0
	s_load_b64 s[52:53], s[38:39], 0x0
	s_add_nc_u64 s[42:43], s[42:43], 1
	s_mul_u64 s[34:35], s[46:47], s[34:35]
	s_wait_alu 0xfffe
	v_cmp_ge_u64_e64 s33, s[42:43], s[6:7]
	s_mul_u64 s[46:47], s[50:51], s[46:47]
	s_add_nc_u64 s[38:39], s[38:39], 8
	s_wait_alu 0xfffe
	s_sub_nc_u64 s[20:21], s[20:21], s[46:47]
	s_add_nc_u64 s[40:41], s[40:41], 8
	s_add_nc_u64 s[8:9], s[8:9], 8
	s_and_b32 vcc_lo, exec_lo, s33
	s_wait_kmcnt 0x0
	s_wait_alu 0xfffe
	s_mul_u64 s[46:47], s[48:49], s[20:21]
	s_mul_u64 s[20:21], s[52:53], s[20:21]
	s_wait_alu 0xfffe
	s_add_nc_u64 s[30:31], s[46:47], s[30:31]
	s_add_nc_u64 s[4:5], s[20:21], s[4:5]
	s_cbranch_vccnz .LBB0_13
; %bb.12:                               ;   in Loop: Header=BB0_7 Depth=1
	s_mov_b64 s[20:21], s[50:51]
	s_branch .LBB0_7
.LBB0_13:
	v_cmp_lt_u64_e64 s8, s[28:29], s[34:35]
	s_mov_b64 s[20:21], 0
	s_delay_alu instid0(VALU_DEP_1)
	s_and_b32 vcc_lo, exec_lo, s8
	s_wait_alu 0xfffe
	s_cbranch_vccnz .LBB0_15
; %bb.14:
	v_cvt_f32_u32_e32 v1, s34
	s_sub_co_i32 s9, 0, s34
	s_delay_alu instid0(VALU_DEP_1) | instskip(NEXT) | instid1(TRANS32_DEP_1)
	v_rcp_iflag_f32_e32 v1, v1
	v_mul_f32_e32 v1, 0x4f7ffffe, v1
	s_delay_alu instid0(VALU_DEP_1) | instskip(NEXT) | instid1(VALU_DEP_1)
	v_cvt_u32_f32_e32 v1, v1
	v_readfirstlane_b32 s8, v1
	s_delay_alu instid0(VALU_DEP_1) | instskip(NEXT) | instid1(SALU_CYCLE_1)
	s_mul_i32 s9, s9, s8
	s_mul_hi_u32 s9, s8, s9
	s_delay_alu instid0(SALU_CYCLE_1) | instskip(NEXT) | instid1(SALU_CYCLE_1)
	s_add_co_i32 s8, s8, s9
	s_mul_hi_u32 s8, s28, s8
	s_delay_alu instid0(SALU_CYCLE_1) | instskip(SKIP_2) | instid1(SALU_CYCLE_1)
	s_mul_i32 s9, s8, s34
	s_add_co_i32 s20, s8, 1
	s_sub_co_i32 s9, s28, s9
	s_sub_co_i32 s21, s9, s34
	s_cmp_ge_u32 s9, s34
	s_wait_alu 0xfffe
	s_cselect_b32 s8, s20, s8
	s_cselect_b32 s9, s21, s9
	s_add_co_i32 s20, s8, 1
	s_cmp_ge_u32 s9, s34
	s_mov_b32 s21, 0
	s_wait_alu 0xfffe
	s_cselect_b32 s20, s20, s8
.LBB0_15:
	v_mul_hi_u32 v25, 0x1745d175, v0
                                        ; implicit-def: $vgpr12
                                        ; implicit-def: $vgpr18
                                        ; implicit-def: $vgpr14
                                        ; implicit-def: $vgpr6
                                        ; implicit-def: $vgpr8
                                        ; implicit-def: $vgpr2
                                        ; implicit-def: $vgpr22
                                        ; implicit-def: $vgpr20
                                        ; implicit-def: $vgpr16
                                        ; implicit-def: $vgpr10
                                        ; implicit-def: $vgpr4
	s_delay_alu instid0(VALU_DEP_1) | instskip(NEXT) | instid1(VALU_DEP_1)
	v_mul_u32_u24_e32 v1, 11, v25
	v_sub_nc_u32_e32 v74, v0, v1
	s_delay_alu instid0(VALU_DEP_1) | instskip(NEXT) | instid1(VALU_DEP_1)
	v_add_co_u32 v41, s8, s36, v74
	v_add_co_ci_u32_e64 v42, null, s37, 0, s8
	s_add_nc_u64 s[8:9], s[36:37], 11
	s_wait_alu 0xfffe
	v_cmp_le_u64_e64 s28, s[8:9], s[26:27]
	s_delay_alu instid0(VALU_DEP_2) | instskip(SKIP_3) | instid1(VALU_DEP_2)
	v_cmp_gt_u64_e32 vcc_lo, s[26:27], v[41:42]
	s_lshl_b64 s[8:9], s[6:7], 3
	s_wait_alu 0xfffe
	s_add_nc_u64 s[6:7], s[24:25], s[8:9]
	s_or_b32 s24, s28, vcc_lo
	s_delay_alu instid0(SALU_CYCLE_1)
	s_and_saveexec_b32 s25, s24
	s_cbranch_execz .LBB0_17
; %bb.16:
	s_add_nc_u64 s[8:9], s[10:11], s[8:9]
	v_mad_co_u64_u32 v[1:2], null, s18, v74, 0
	s_load_b64 s[8:9], s[8:9], 0x0
	v_mad_co_u64_u32 v[3:4], null, s16, v25, 0
	v_add_nc_u32_e32 v11, 11, v25
	v_add_nc_u32_e32 v12, 22, v25
	s_lshl_b64 s[10:11], s[30:31], 3
	v_add_nc_u32_e32 v24, 0x4d, v25
	v_add_nc_u32_e32 v26, 0x58, v25
	;; [unrolled: 1-line block ×3, first 2 shown]
	v_mad_co_u64_u32 v[7:8], null, s19, v74, v[2:3]
	v_mov_b32_e32 v2, v4
	v_mad_co_u64_u32 v[5:6], null, s16, v11, 0
	v_add_nc_u32_e32 v13, 33, v25
	v_add_nc_u32_e32 v23, 0x42, v25
	s_delay_alu instid0(VALU_DEP_4)
	v_mad_co_u64_u32 v[8:9], null, s17, v25, v[2:3]
	v_mov_b32_e32 v2, v7
	v_mad_co_u64_u32 v[9:10], null, s16, v12, 0
	v_mov_b32_e32 v4, v6
	s_wait_kmcnt 0x0
	s_mul_u64 s[8:9], s[8:9], s[20:21]
	v_mad_co_u64_u32 v[21:22], null, s16, v23, 0
	s_wait_alu 0xfffe
	s_lshl_b64 s[8:9], s[8:9], 3
	v_mad_co_u64_u32 v[6:7], null, s17, v11, v[4:5]
	v_add_nc_u32_e32 v11, 44, v25
	v_lshlrev_b64_e32 v[1:2], 3, v[1:2]
	s_wait_alu 0xfffe
	s_add_nc_u64 s[8:9], s[12:13], s[8:9]
	v_mov_b32_e32 v4, v8
	s_wait_alu 0xfffe
	s_add_nc_u64 s[8:9], s[8:9], s[10:11]
	v_mad_co_u64_u32 v[7:8], null, s16, v13, 0
	s_wait_alu 0xfffe
	v_add_co_u32 v30, vcc_lo, s8, v1
	s_wait_alu 0xfffd
	v_add_co_ci_u32_e32 v31, vcc_lo, s9, v2, vcc_lo
	v_lshlrev_b64_e32 v[1:2], 3, v[3:4]
	v_mov_b32_e32 v3, v10
	v_lshlrev_b64_e32 v[5:6], 3, v[5:6]
	v_mad_co_u64_u32 v[15:16], null, s16, v11, 0
	v_add_nc_u32_e32 v29, 0x6e, v25
	s_delay_alu instid0(VALU_DEP_4) | instskip(SKIP_4) | instid1(VALU_DEP_4)
	v_mad_co_u64_u32 v[3:4], null, s17, v12, v[3:4]
	v_mov_b32_e32 v4, v8
	v_add_co_u32 v1, vcc_lo, v30, v1
	s_wait_alu 0xfffd
	v_add_co_ci_u32_e32 v2, vcc_lo, v31, v2, vcc_lo
	v_mov_b32_e32 v10, v3
	v_mad_co_u64_u32 v[3:4], null, s17, v13, v[4:5]
	v_add_nc_u32_e32 v13, 55, v25
	v_add_co_u32 v4, vcc_lo, v30, v5
	s_wait_alu 0xfffd
	v_add_co_ci_u32_e32 v5, vcc_lo, v31, v6, vcc_lo
	s_delay_alu instid0(VALU_DEP_3) | instskip(SKIP_1) | instid1(VALU_DEP_1)
	v_mad_co_u64_u32 v[19:20], null, s16, v13, 0
	v_dual_mov_b32 v8, v3 :: v_dual_mov_b32 v3, v16
	v_lshlrev_b64_e32 v[6:7], 3, v[7:8]
	s_delay_alu instid0(VALU_DEP_2) | instskip(NEXT) | instid1(VALU_DEP_4)
	v_mad_co_u64_u32 v[11:12], null, s17, v11, v[3:4]
	v_mov_b32_e32 v3, v20
	v_lshlrev_b64_e32 v[9:10], 3, v[9:10]
	s_delay_alu instid0(VALU_DEP_3) | instskip(NEXT) | instid1(VALU_DEP_2)
	v_mov_b32_e32 v16, v11
	v_add_co_u32 v8, vcc_lo, v30, v9
	s_wait_alu 0xfffd
	s_delay_alu instid0(VALU_DEP_3)
	v_add_co_ci_u32_e32 v9, vcc_lo, v31, v10, vcc_lo
	v_add_co_u32 v6, vcc_lo, v30, v6
	s_wait_alu 0xfffd
	v_add_co_ci_u32_e32 v7, vcc_lo, v31, v7, vcc_lo
	v_mad_co_u64_u32 v[10:11], null, s17, v13, v[3:4]
	v_mov_b32_e32 v3, v22
	s_clause 0x3
	global_load_b64 v[11:12], v[1:2], off
	global_load_b64 v[17:18], v[4:5], off
	;; [unrolled: 1-line block ×4, first 2 shown]
	v_mad_co_u64_u32 v[7:8], null, s16, v24, 0
	v_lshlrev_b64_e32 v[1:2], 3, v[15:16]
	v_mad_co_u64_u32 v[3:4], null, s17, v23, v[3:4]
	v_mov_b32_e32 v20, v10
	v_mad_co_u64_u32 v[9:10], null, s16, v26, 0
	v_mov_b32_e32 v4, v8
	v_add_co_u32 v1, vcc_lo, v30, v1
	s_delay_alu instid0(VALU_DEP_4) | instskip(SKIP_4) | instid1(VALU_DEP_4)
	v_lshlrev_b64_e32 v[15:16], 3, v[19:20]
	v_mad_co_u64_u32 v[19:20], null, s16, v28, 0
	v_mov_b32_e32 v22, v3
	s_wait_alu 0xfffd
	v_add_co_ci_u32_e32 v2, vcc_lo, v31, v2, vcc_lo
	v_add_co_u32 v15, vcc_lo, v30, v15
	s_wait_alu 0xfffd
	v_add_co_ci_u32_e32 v16, vcc_lo, v31, v16, vcc_lo
	s_wait_loadcnt 0x0
	v_mad_co_u64_u32 v[3:4], null, s17, v24, v[4:5]
	v_mov_b32_e32 v4, v10
	s_delay_alu instid0(VALU_DEP_1)
	v_mad_co_u64_u32 v[23:24], null, s17, v26, v[4:5]
	v_mad_co_u64_u32 v[26:27], null, s16, v29, 0
	v_mov_b32_e32 v4, v20
	v_mov_b32_e32 v8, v3
	v_lshlrev_b64_e32 v[20:21], 3, v[21:22]
	v_mov_b32_e32 v10, v23
	s_delay_alu instid0(VALU_DEP_4) | instskip(SKIP_4) | instid1(VALU_DEP_4)
	v_mad_co_u64_u32 v[3:4], null, s17, v28, v[4:5]
	v_mov_b32_e32 v4, v27
	v_lshlrev_b64_e32 v[7:8], 3, v[7:8]
	v_add_co_u32 v22, vcc_lo, v30, v20
	v_lshlrev_b64_e32 v[9:10], 3, v[9:10]
	v_mad_co_u64_u32 v[27:28], null, s17, v29, v[4:5]
	v_mov_b32_e32 v20, v3
	s_wait_alu 0xfffd
	v_add_co_ci_u32_e32 v23, vcc_lo, v31, v21, vcc_lo
	v_add_co_u32 v28, vcc_lo, v30, v7
	s_delay_alu instid0(VALU_DEP_3)
	v_lshlrev_b64_e32 v[3:4], 3, v[19:20]
	s_wait_alu 0xfffd
	v_add_co_ci_u32_e32 v29, vcc_lo, v31, v8, vcc_lo
	v_add_co_u32 v19, vcc_lo, v30, v9
	v_lshlrev_b64_e32 v[7:8], 3, v[26:27]
	s_wait_alu 0xfffd
	v_add_co_ci_u32_e32 v20, vcc_lo, v31, v10, vcc_lo
	v_add_co_u32 v26, vcc_lo, v30, v3
	s_wait_alu 0xfffd
	v_add_co_ci_u32_e32 v27, vcc_lo, v31, v4, vcc_lo
	v_add_co_u32 v30, vcc_lo, v30, v7
	s_wait_alu 0xfffd
	v_add_co_ci_u32_e32 v31, vcc_lo, v31, v8, vcc_lo
	s_clause 0x6
	global_load_b64 v[7:8], v[1:2], off
	global_load_b64 v[1:2], v[15:16], off
	;; [unrolled: 1-line block ×7, first 2 shown]
.LBB0_17:
	s_or_b32 exec_lo, exec_lo, s25
	v_dual_add_f32 v23, v11, v17 :: v_dual_add_f32 v24, v12, v18
	s_wait_loadcnt 0x0
	v_dual_add_f32 v26, v17, v21 :: v_dual_sub_f32 v27, v18, v22
	v_dual_sub_f32 v28, v17, v21 :: v_dual_add_f32 v29, v18, v22
	s_delay_alu instid0(VALU_DEP_3) | instskip(NEXT) | instid1(VALU_DEP_2)
	v_dual_add_f32 v23, v23, v13 :: v_dual_add_f32 v24, v24, v14
	v_dual_mul_f32 v30, 0xbf68dda4, v27 :: v_dual_mul_f32 v31, 0xbf68dda4, v28
	v_dual_mul_f32 v32, 0xbf7d64f0, v27 :: v_dual_mul_f32 v33, 0xbf7d64f0, v28
	s_delay_alu instid0(VALU_DEP_3) | instskip(SKIP_1) | instid1(VALU_DEP_2)
	v_dual_add_f32 v17, v23, v5 :: v_dual_add_f32 v18, v24, v6
	v_dual_mul_f32 v23, 0xbf0a6770, v27 :: v_dual_mul_f32 v24, 0xbf0a6770, v28
	v_dual_fmamk_f32 v36, v26, 0x3ed4b147, v30 :: v_dual_add_f32 v17, v17, v7
	s_delay_alu instid0(VALU_DEP_3) | instskip(SKIP_1) | instid1(VALU_DEP_4)
	v_add_f32_e32 v18, v18, v8
	v_fma_f32 v37, 0x3ed4b147, v29, -v31
	v_fma_f32 v35, 0x3f575c64, v29, -v24
	v_fmac_f32_e32 v24, 0x3f575c64, v29
	s_delay_alu instid0(VALU_DEP_4) | instskip(SKIP_3) | instid1(VALU_DEP_4)
	v_dual_add_f32 v17, v17, v1 :: v_dual_add_f32 v18, v18, v2
	v_fmamk_f32 v34, v26, 0x3f575c64, v23
	v_fma_f32 v23, 0x3f575c64, v26, -v23
	v_fma_f32 v30, 0x3ed4b147, v26, -v30
	v_dual_add_f32 v17, v17, v3 :: v_dual_add_f32 v18, v18, v4
	v_fmac_f32_e32 v31, 0x3ed4b147, v29
	s_delay_alu instid0(VALU_DEP_4) | instskip(NEXT) | instid1(VALU_DEP_3)
	v_dual_fmamk_f32 v38, v26, 0xbe11bafb, v32 :: v_dual_add_f32 v23, v11, v23
	v_dual_add_f32 v17, v9, v17 :: v_dual_add_f32 v18, v10, v18
	v_add_f32_e32 v35, v12, v35
	v_add_f32_e32 v24, v12, v24
	v_fma_f32 v32, 0xbe11bafb, v26, -v32
	s_delay_alu instid0(VALU_DEP_4) | instskip(SKIP_2) | instid1(VALU_DEP_3)
	v_dual_add_f32 v17, v15, v17 :: v_dual_add_f32 v18, v16, v18
	v_add_f32_e32 v36, v11, v36
	v_dual_add_f32 v34, v11, v34 :: v_dual_add_f32 v37, v12, v37
	v_dual_add_f32 v17, v19, v17 :: v_dual_add_f32 v18, v20, v18
	v_add_f32_e32 v32, v11, v32
	v_sub_f32_e32 v45, v14, v20
	s_load_b64 s[6:7], s[6:7], 0x0
	s_delay_alu instid0(VALU_DEP_3)
	v_dual_add_f32 v17, v21, v17 :: v_dual_add_f32 v18, v22, v18
	v_dual_add_f32 v21, v11, v30 :: v_dual_add_f32 v22, v12, v31
	v_dual_add_f32 v31, v11, v38 :: v_dual_mul_f32 v30, 0xbf4178ce, v27
	v_fma_f32 v38, 0xbe11bafb, v29, -v33
	v_mul_f32_e32 v27, 0xbe903f40, v27
	v_dual_fmac_f32 v33, 0xbe11bafb, v29 :: v_dual_add_f32 v46, v13, v19
	s_delay_alu instid0(VALU_DEP_3) | instskip(SKIP_3) | instid1(VALU_DEP_4)
	v_dual_fmamk_f32 v39, v26, 0xbf27a4f4, v30 :: v_dual_add_f32 v38, v12, v38
	v_mul_f32_e32 v40, 0xbf4178ce, v28
	v_fma_f32 v30, 0xbf27a4f4, v26, -v30
	v_fmamk_f32 v43, v26, 0xbf75a155, v27
	v_dual_add_f32 v39, v11, v39 :: v_dual_mul_f32 v28, 0xbe903f40, v28
	s_delay_alu instid0(VALU_DEP_4) | instskip(SKIP_2) | instid1(VALU_DEP_3)
	v_fma_f32 v42, 0xbf27a4f4, v29, -v40
	v_dual_fmac_f32 v40, 0xbf27a4f4, v29 :: v_dual_sub_f32 v13, v13, v19
	v_dual_add_f32 v30, v11, v30 :: v_dual_mul_f32 v19, 0xbf68dda4, v45
	v_dual_add_f32 v42, v12, v42 :: v_dual_add_f32 v43, v11, v43
	v_fma_f32 v44, 0xbf75a155, v29, -v28
	v_fma_f32 v26, 0xbf75a155, v26, -v27
	s_delay_alu instid0(VALU_DEP_4) | instskip(SKIP_1) | instid1(VALU_DEP_3)
	v_dual_add_f32 v40, v12, v40 :: v_dual_fmamk_f32 v27, v46, 0x3ed4b147, v19
	v_fmac_f32_e32 v28, 0xbf75a155, v29
	v_dual_add_f32 v44, v12, v44 :: v_dual_add_f32 v11, v11, v26
	v_mul_f32_e32 v26, 0xbf4178ce, v45
	v_add_f32_e32 v33, v12, v33
	s_delay_alu instid0(VALU_DEP_4) | instskip(SKIP_1) | instid1(VALU_DEP_4)
	v_dual_add_f32 v27, v34, v27 :: v_dual_add_f32 v12, v12, v28
	v_fma_f32 v19, 0x3ed4b147, v46, -v19
	v_fmamk_f32 v29, v46, 0xbf27a4f4, v26
	v_add_f32_e32 v14, v14, v20
	s_delay_alu instid0(VALU_DEP_3) | instskip(NEXT) | instid1(VALU_DEP_3)
	v_dual_mul_f32 v34, 0xbf4178ce, v13 :: v_dual_add_f32 v19, v23, v19
	v_add_f32_e32 v23, v36, v29
	v_fma_f32 v26, 0xbf27a4f4, v46, -v26
	v_mul_f32_e32 v20, 0xbf68dda4, v13
	s_delay_alu instid0(VALU_DEP_4) | instskip(NEXT) | instid1(VALU_DEP_3)
	v_fma_f32 v29, 0xbf27a4f4, v14, -v34
	v_add_f32_e32 v21, v21, v26
	s_delay_alu instid0(VALU_DEP_3) | instskip(NEXT) | instid1(VALU_DEP_3)
	v_fma_f32 v28, 0x3ed4b147, v14, -v20
	v_dual_fmac_f32 v20, 0x3ed4b147, v14 :: v_dual_add_f32 v29, v37, v29
	s_delay_alu instid0(VALU_DEP_2) | instskip(NEXT) | instid1(VALU_DEP_2)
	v_dual_add_f32 v28, v35, v28 :: v_dual_mul_f32 v35, 0x3e903f40, v13
	v_add_f32_e32 v20, v24, v20
	v_mul_f32_e32 v24, 0x3e903f40, v45
	s_delay_alu instid0(VALU_DEP_3) | instskip(NEXT) | instid1(VALU_DEP_2)
	v_fma_f32 v26, 0xbf75a155, v14, -v35
	v_dual_fmac_f32 v35, 0xbf75a155, v14 :: v_dual_fmamk_f32 v36, v46, 0xbf75a155, v24
	v_fma_f32 v24, 0xbf75a155, v46, -v24
	s_delay_alu instid0(VALU_DEP_3) | instskip(NEXT) | instid1(VALU_DEP_2)
	v_add_f32_e32 v26, v38, v26
	v_add_f32_e32 v24, v32, v24
	s_delay_alu instid0(VALU_DEP_4) | instskip(NEXT) | instid1(VALU_DEP_1)
	v_dual_add_f32 v32, v33, v35 :: v_dual_mul_f32 v33, 0x3f0a6770, v45
	v_fmamk_f32 v38, v46, 0x3f575c64, v33
	v_fma_f32 v33, 0x3f575c64, v46, -v33
	s_delay_alu instid0(VALU_DEP_1) | instskip(SKIP_2) | instid1(VALU_DEP_2)
	v_add_f32_e32 v11, v11, v33
	v_dual_add_f32 v31, v31, v36 :: v_dual_mul_f32 v36, 0x3f7d64f0, v13
	v_mul_f32_e32 v13, 0x3f0a6770, v13
	v_fma_f32 v35, 0xbe11bafb, v14, -v36
	s_delay_alu instid0(VALU_DEP_1) | instskip(SKIP_1) | instid1(VALU_DEP_1)
	v_dual_fmac_f32 v36, 0xbe11bafb, v14 :: v_dual_add_f32 v35, v42, v35
	v_fmac_f32_e32 v34, 0xbf27a4f4, v14
	v_add_f32_e32 v22, v22, v34
	v_mul_f32_e32 v34, 0x3f7d64f0, v45
	s_delay_alu instid0(VALU_DEP_1) | instskip(SKIP_1) | instid1(VALU_DEP_1)
	v_fmamk_f32 v37, v46, 0xbe11bafb, v34
	v_fma_f32 v34, 0xbe11bafb, v46, -v34
	v_add_f32_e32 v30, v30, v34
	v_add_f32_e32 v34, v40, v36
	v_sub_f32_e32 v40, v5, v15
	v_dual_add_f32 v5, v5, v15 :: v_dual_add_f32 v36, v43, v38
	v_dual_sub_f32 v38, v6, v16 :: v_dual_add_f32 v37, v39, v37
	v_fma_f32 v39, 0x3f575c64, v14, -v13
	v_dual_fmac_f32 v13, 0x3f575c64, v14 :: v_dual_add_f32 v6, v6, v16
	s_delay_alu instid0(VALU_DEP_3) | instskip(SKIP_1) | instid1(VALU_DEP_3)
	v_mul_f32_e32 v33, 0x3e903f40, v38
	v_dual_mul_f32 v14, 0xbf7d64f0, v40 :: v_dual_mul_f32 v15, 0xbf7d64f0, v38
	v_add_f32_e32 v12, v12, v13
	v_mul_f32_e32 v42, 0x3f68dda4, v40
	s_delay_alu instid0(VALU_DEP_3) | instskip(NEXT) | instid1(VALU_DEP_1)
	v_fma_f32 v13, 0xbe11bafb, v6, -v14
	v_dual_fmac_f32 v14, 0xbe11bafb, v6 :: v_dual_add_f32 v13, v28, v13
	v_fmamk_f32 v28, v5, 0xbf75a155, v33
	s_delay_alu instid0(VALU_DEP_2) | instskip(NEXT) | instid1(VALU_DEP_2)
	v_add_f32_e32 v14, v20, v14
	v_add_f32_e32 v20, v23, v28
	v_fma_f32 v28, 0xbf75a155, v5, -v33
	v_dual_add_f32 v16, v44, v39 :: v_dual_fmamk_f32 v39, v5, 0xbe11bafb, v15
	v_fma_f32 v15, 0xbe11bafb, v5, -v15
	s_delay_alu instid0(VALU_DEP_3) | instskip(NEXT) | instid1(VALU_DEP_3)
	v_add_f32_e32 v21, v21, v28
	v_add_f32_e32 v27, v27, v39
	v_mul_f32_e32 v39, 0x3e903f40, v40
	s_delay_alu instid0(VALU_DEP_4) | instskip(NEXT) | instid1(VALU_DEP_2)
	v_add_f32_e32 v15, v19, v15
	v_fma_f32 v23, 0xbf75a155, v6, -v39
	v_fmac_f32_e32 v39, 0xbf75a155, v6
	v_mul_f32_e32 v19, 0x3f68dda4, v38
	s_delay_alu instid0(VALU_DEP_3) | instskip(SKIP_1) | instid1(VALU_DEP_3)
	v_add_f32_e32 v23, v29, v23
	v_fma_f32 v29, 0x3ed4b147, v6, -v42
	v_fmamk_f32 v33, v5, 0x3ed4b147, v19
	v_fma_f32 v19, 0x3ed4b147, v5, -v19
	s_delay_alu instid0(VALU_DEP_3) | instskip(NEXT) | instid1(VALU_DEP_3)
	v_add_f32_e32 v26, v26, v29
	v_dual_add_f32 v28, v31, v33 :: v_dual_mul_f32 v31, 0xbf0a6770, v38
	v_mul_f32_e32 v33, 0xbf0a6770, v40
	s_delay_alu instid0(VALU_DEP_4) | instskip(NEXT) | instid1(VALU_DEP_3)
	v_dual_add_f32 v19, v24, v19 :: v_dual_mul_f32 v38, 0xbf4178ce, v38
	v_dual_add_f32 v22, v22, v39 :: v_dual_fmamk_f32 v29, v5, 0x3f575c64, v31
	v_fma_f32 v31, 0x3f575c64, v5, -v31
	s_delay_alu instid0(VALU_DEP_2) | instskip(NEXT) | instid1(VALU_DEP_2)
	v_dual_add_f32 v29, v37, v29 :: v_dual_fmac_f32 v42, 0x3ed4b147, v6
	v_dual_mul_f32 v37, 0xbf4178ce, v40 :: v_dual_add_f32 v30, v30, v31
	s_delay_alu instid0(VALU_DEP_2) | instskip(SKIP_1) | instid1(VALU_DEP_1)
	v_add_f32_e32 v24, v32, v42
	v_fma_f32 v32, 0x3f575c64, v6, -v33
	v_dual_fmac_f32 v33, 0x3f575c64, v6 :: v_dual_add_f32 v32, v35, v32
	v_fmamk_f32 v35, v5, 0xbf27a4f4, v38
	s_delay_alu instid0(VALU_DEP_2) | instskip(SKIP_2) | instid1(VALU_DEP_4)
	v_add_f32_e32 v31, v34, v33
	v_sub_f32_e32 v33, v8, v10
	v_fma_f32 v5, 0xbf27a4f4, v5, -v38
	v_add_f32_e32 v34, v36, v35
	v_add_f32_e32 v36, v7, v9
	v_sub_f32_e32 v7, v7, v9
	v_fma_f32 v35, 0xbf27a4f4, v6, -v37
	v_fmac_f32_e32 v37, 0xbf27a4f4, v6
	v_dual_add_f32 v6, v8, v10 :: v_dual_mul_f32 v9, 0xbf4178ce, v33
	s_delay_alu instid0(VALU_DEP_4) | instskip(NEXT) | instid1(VALU_DEP_3)
	v_dual_mul_f32 v8, 0xbf4178ce, v7 :: v_dual_add_f32 v5, v11, v5
	v_add_f32_e32 v11, v12, v37
	s_delay_alu instid0(VALU_DEP_2) | instskip(NEXT) | instid1(VALU_DEP_1)
	v_fma_f32 v12, 0xbf27a4f4, v6, -v8
	v_dual_add_f32 v12, v13, v12 :: v_dual_mul_f32 v13, 0x3f7d64f0, v7
	v_fmamk_f32 v10, v36, 0xbf27a4f4, v9
	v_fma_f32 v9, 0xbf27a4f4, v36, -v9
	s_delay_alu instid0(VALU_DEP_1) | instskip(NEXT) | instid1(VALU_DEP_4)
	v_add_f32_e32 v9, v15, v9
	v_fma_f32 v15, 0xbe11bafb, v6, -v13
	v_dual_add_f32 v16, v16, v35 :: v_dual_fmac_f32 v13, 0xbe11bafb, v6
	s_delay_alu instid0(VALU_DEP_2) | instskip(SKIP_2) | instid1(VALU_DEP_4)
	v_add_f32_e32 v15, v23, v15
	v_dual_add_f32 v10, v27, v10 :: v_dual_mul_f32 v27, 0x3f7d64f0, v33
	v_mul_f32_e32 v23, 0xbf0a6770, v7
	v_add_f32_e32 v13, v22, v13
	s_delay_alu instid0(VALU_DEP_3) | instskip(SKIP_2) | instid1(VALU_DEP_3)
	v_fmamk_f32 v35, v36, 0xbe11bafb, v27
	v_fma_f32 v27, 0xbe11bafb, v36, -v27
	v_fmac_f32_e32 v8, 0xbf27a4f4, v6
	v_add_f32_e32 v20, v20, v35
	s_delay_alu instid0(VALU_DEP_2) | instskip(SKIP_2) | instid1(VALU_DEP_2)
	v_dual_add_f32 v21, v21, v27 :: v_dual_add_f32 v8, v14, v8
	v_mul_f32_e32 v14, 0xbf0a6770, v33
	v_mul_f32_e32 v27, 0xbe903f40, v33
	v_fmamk_f32 v35, v36, 0x3f575c64, v14
	v_fma_f32 v14, 0x3f575c64, v36, -v14
	s_delay_alu instid0(VALU_DEP_3) | instskip(SKIP_1) | instid1(VALU_DEP_4)
	v_fmamk_f32 v37, v36, 0xbf75a155, v27
	v_fma_f32 v27, 0xbf75a155, v36, -v27
	v_add_f32_e32 v22, v28, v35
	v_fma_f32 v28, 0x3f575c64, v6, -v23
	v_fmac_f32_e32 v23, 0x3f575c64, v6
	v_dual_mul_f32 v35, 0xbe903f40, v7 :: v_dual_add_f32 v14, v19, v14
	v_add_f32_e32 v27, v30, v27
	s_delay_alu instid0(VALU_DEP_4)
	v_add_f32_e32 v26, v26, v28
	v_sub_f32_e32 v30, v2, v4
	v_dual_add_f32 v28, v24, v23 :: v_dual_add_f32 v23, v29, v37
	v_dual_mul_f32 v24, 0x3f68dda4, v33 :: v_dual_mul_f32 v7, 0x3f68dda4, v7
	v_fma_f32 v19, 0xbf75a155, v6, -v35
	v_add_f32_e32 v33, v1, v3
	v_sub_f32_e32 v1, v1, v3
	s_delay_alu instid0(VALU_DEP_4)
	v_fmamk_f32 v29, v36, 0x3ed4b147, v24
	v_fma_f32 v3, 0x3ed4b147, v36, -v24
	v_dual_add_f32 v24, v2, v4 :: v_dual_add_f32 v19, v32, v19
	v_fma_f32 v32, 0x3ed4b147, v6, -v7
	v_fmac_f32_e32 v35, 0xbf75a155, v6
	v_fmac_f32_e32 v7, 0x3ed4b147, v6
	v_dual_add_f32 v29, v34, v29 :: v_dual_mul_f32 v34, 0xbe903f40, v30
	s_delay_alu instid0(VALU_DEP_4) | instskip(NEXT) | instid1(VALU_DEP_4)
	v_add_f32_e32 v16, v16, v32
	v_dual_mul_f32 v32, 0xbe903f40, v1 :: v_dual_add_f32 v31, v31, v35
	v_add_f32_e32 v35, v5, v3
	s_delay_alu instid0(VALU_DEP_4) | instskip(SKIP_1) | instid1(VALU_DEP_4)
	v_fmamk_f32 v6, v33, 0xbf75a155, v34
	v_fma_f32 v4, 0xbf75a155, v33, -v34
	v_fma_f32 v3, 0xbf75a155, v24, -v32
	v_fmac_f32_e32 v32, 0xbf75a155, v24
	s_delay_alu instid0(VALU_DEP_4) | instskip(SKIP_4) | instid1(VALU_DEP_4)
	v_add_f32_e32 v2, v10, v6
	v_mul_f32_e32 v10, 0x3f0a6770, v1
	v_add_f32_e32 v4, v9, v4
	v_dual_add_f32 v36, v11, v7 :: v_dual_mul_f32 v7, 0x3f0a6770, v30
	v_dual_add_f32 v5, v8, v32 :: v_dual_mul_f32 v32, 0xbf4178ce, v1
	v_fma_f32 v8, 0x3f575c64, v24, -v10
	s_delay_alu instid0(VALU_DEP_3) | instskip(SKIP_2) | instid1(VALU_DEP_4)
	v_dual_add_f32 v3, v12, v3 :: v_dual_fmamk_f32 v6, v33, 0x3f575c64, v7
	v_fma_f32 v9, 0x3f575c64, v33, -v7
	v_mul_f32_e32 v11, 0xbf4178ce, v30
	v_add_f32_e32 v7, v15, v8
	v_fma_f32 v15, 0xbf27a4f4, v24, -v32
	v_add_f32_e32 v6, v20, v6
	v_add_f32_e32 v8, v21, v9
	v_mul_f32_e32 v21, 0x3f68dda4, v1
	v_fmac_f32_e32 v10, 0x3f575c64, v24
	v_fmamk_f32 v12, v33, 0xbf27a4f4, v11
	v_fma_f32 v20, 0xbf27a4f4, v33, -v11
	v_add_f32_e32 v11, v26, v15
	v_fma_f32 v15, 0x3ed4b147, v24, -v21
	s_delay_alu instid0(VALU_DEP_1) | instskip(SKIP_2) | instid1(VALU_DEP_1)
	v_add_f32_e32 v15, v19, v15
	v_dual_add_f32 v9, v13, v10 :: v_dual_add_f32 v10, v22, v12
	v_dual_mul_f32 v13, 0x3f68dda4, v30 :: v_dual_add_f32 v12, v14, v20
	v_fmamk_f32 v22, v33, 0x3ed4b147, v13
	v_fma_f32 v13, 0x3ed4b147, v33, -v13
	s_delay_alu instid0(VALU_DEP_1) | instskip(NEXT) | instid1(VALU_DEP_3)
	v_add_f32_e32 v19, v27, v13
	v_add_f32_e32 v14, v23, v22
	v_mul_f32_e32 v22, 0xbf7d64f0, v30
	s_delay_alu instid0(VALU_DEP_1) | instskip(SKIP_4) | instid1(VALU_DEP_3)
	v_fmamk_f32 v13, v33, 0xbe11bafb, v22
	v_fmac_f32_e32 v32, 0xbf27a4f4, v24
	v_mul_f32_e32 v26, 0xbf7d64f0, v1
	v_mad_u32_u24 v1, 0x3c8, v25, 0
	v_fma_f32 v27, 0xbe11bafb, v33, -v22
	v_fma_f32 v23, 0xbe11bafb, v24, -v26
	s_delay_alu instid0(VALU_DEP_1) | instskip(NEXT) | instid1(VALU_DEP_1)
	v_dual_fmac_f32 v21, 0x3ed4b147, v24 :: v_dual_add_f32 v22, v16, v23
	v_add_f32_e32 v20, v31, v21
	v_add_f32_e32 v21, v29, v13
	;; [unrolled: 1-line block ×3, first 2 shown]
	v_fmac_f32_e32 v26, 0xbe11bafb, v24
	v_lshl_add_u32 v29, v74, 3, v1
	s_delay_alu instid0(VALU_DEP_2)
	v_dual_add_f32 v23, v35, v27 :: v_dual_add_f32 v24, v36, v26
	ds_store_2addr_b64 v29, v[17:18], v[2:3] offset1:11
	ds_store_2addr_b64 v29, v[6:7], v[10:11] offset0:22 offset1:33
	ds_store_2addr_b64 v29, v[14:15], v[21:22] offset0:44 offset1:55
	;; [unrolled: 1-line block ×4, first 2 shown]
	ds_store_b64 v29, v[4:5] offset:880
	global_wb scope:SCOPE_SE
	s_wait_dscnt 0x0
	s_wait_kmcnt 0x0
	s_barrier_signal -1
	s_barrier_wait -1
	global_inv scope:SCOPE_SE
	s_and_saveexec_b32 s8, s24
	s_cbranch_execz .LBB0_19
; %bb.18:
	v_mul_hi_u32 v2, 0x1745d175, v25
	v_lshlrev_b32_e32 v3, 3, v74
	v_mul_lo_u32 v76, v41, -11
	s_add_co_i32 s8, 0, 0x2998
	s_mul_u64 s[6:7], s[6:7], s[20:21]
	s_lshl_b64 s[4:5], s[4:5], 3
	s_delay_alu instid0(VALU_DEP_3) | instskip(NEXT) | instid1(VALU_DEP_1)
	v_mul_u32_u24_e32 v2, 11, v2
	v_sub_nc_u32_e32 v75, v25, v2
	s_delay_alu instid0(VALU_DEP_1) | instskip(NEXT) | instid1(VALU_DEP_1)
	v_mul_u32_u24_e32 v2, 10, v75
	v_lshlrev_b32_e32 v2, 3, v2
	s_clause 0x4
	global_load_b128 v[17:20], v2, s[22:23] offset:32
	global_load_b128 v[13:16], v2, s[22:23] offset:16
	;; [unrolled: 1-line block ×3, first 2 shown]
	global_load_b128 v[5:8], v2, s[22:23]
	global_load_b128 v[21:24], v2, s[22:23] offset:64
	v_mul_i32_i24_e32 v2, 0xfffffc90, v25
	s_delay_alu instid0(VALU_DEP_1) | instskip(SKIP_1) | instid1(VALU_DEP_2)
	v_add3_u32 v25, v1, v2, v3
	v_add_nc_u32_e32 v1, 0x6e, v75
	v_add_nc_u32_e32 v30, 0x1c00, v25
	s_delay_alu instid0(VALU_DEP_2)
	v_mul_lo_u32 v29, v1, v41
	v_add_nc_u32_e32 v26, 0xc00, v25
	v_add_nc_u32_e32 v27, 0x1400, v25
	v_add_nc_u32_e32 v28, 0x400, v25
	ds_load_2addr_b64 v[1:4], v25 offset1:121
	ds_load_b64 v[42:43], v25 offset:9680
	ds_load_2addr_b64 v[33:36], v26 offset0:100 offset1:221
	ds_load_2addr_b64 v[37:40], v27 offset0:86 offset1:207
	;; [unrolled: 1-line block ×3, first 2 shown]
	v_mul_lo_u32 v41, v75, v41
	v_add_nc_u32_e32 v47, v29, v76
	v_lshrrev_b32_e32 v46, 3, v29
	v_lshrrev_b32_e32 v44, 9, v29
	v_and_b32_e32 v45, 63, v29
	ds_load_2addr_b64 v[29:32], v30 offset0:72 offset1:193
	v_lshrrev_b32_e32 v48, 9, v47
	v_and_b32_e32 v49, 63, v47
	v_lshrrev_b32_e32 v50, 3, v47
	v_add_nc_u32_e32 v47, v47, v76
	v_and_b32_e32 v46, 0x1f8, v46
	v_and_b32_e32 v51, 0x1f8, v48
	v_and_b32_e32 v44, 0x1f8, v44
	v_and_b32_e32 v50, 0x1f8, v50
	v_lshrrev_b32_e32 v52, 9, v47
	v_and_b32_e32 v53, 63, v47
	v_lshrrev_b32_e32 v55, 3, v47
	v_add_nc_u32_e32 v56, v47, v76
	s_wait_alu 0xfffe
	v_add_nc_u32_e32 v57, s8, v51
	v_and_b32_e32 v51, 0x1f8, v52
	v_lshl_add_u32 v58, v53, 3, 0
	v_and_b32_e32 v52, 0x1f8, v55
	v_lshrrev_b32_e32 v53, 9, v56
	v_and_b32_e32 v55, 63, v56
	v_lshrrev_b32_e32 v59, 3, v56
	v_add_nc_u32_e32 v56, v56, v76
	v_add_nc_u32_e32 v46, s8, v46
	;; [unrolled: 1-line block ×3, first 2 shown]
	v_lshl_add_u32 v45, v45, 3, 0
	v_add_nc_u32_e32 v60, s8, v51
	v_add_nc_u32_e32 v44, s8, v44
	v_lshl_add_u32 v54, v49, 3, 0
	v_and_b32_e32 v61, 0x1f8, v53
	v_and_b32_e32 v59, 0x1f8, v59
	v_lshrrev_b32_e32 v63, 9, v56
	v_and_b32_e32 v66, 63, v56
	v_lshrrev_b32_e32 v67, 3, v56
	v_add_nc_u32_e32 v68, v56, v76
	ds_load_b64 v[46:47], v46 offset:512
	ds_load_b64 v[48:49], v45 offset:10648
	;; [unrolled: 1-line block ×3, first 2 shown]
	v_add_nc_u32_e32 v62, s8, v52
	ds_load_b64 v[50:51], v50 offset:512
	ds_load_b64 v[52:53], v60 offset:1024
	;; [unrolled: 1-line block ×4, first 2 shown]
	v_lshl_add_u32 v55, v55, 3, 0
	v_add_nc_u32_e32 v54, s8, v61
	v_add_nc_u32_e32 v69, s8, v59
	v_and_b32_e32 v70, 0x1f8, v63
	v_lshl_add_u32 v72, v66, 3, 0
	v_and_b32_e32 v66, 0x1f8, v67
	v_lshrrev_b32_e32 v67, 9, v68
	ds_load_b64 v[60:61], v58 offset:10648
	ds_load_b64 v[62:63], v62 offset:512
	;; [unrolled: 1-line block ×4, first 2 shown]
	v_add_nc_u32_e32 v80, s8, v70
	v_and_b32_e32 v71, 63, v68
	v_add_nc_u32_e32 v70, s8, v66
	v_and_b32_e32 v81, 0x1f8, v67
	ds_load_b64 v[66:67], v69 offset:512
	v_lshrrev_b32_e32 v73, 3, v68
	v_add_nc_u32_e32 v68, v68, v76
	v_lshl_add_u32 v77, v71, 3, 0
	s_wait_dscnt 0xa
	v_mul_f32_e32 v79, v49, v47
	v_dual_mul_f32 v47, v48, v47 :: v_dual_and_b32 v82, 0x1f8, v73
	v_lshrrev_b32_e32 v83, 9, v68
	v_and_b32_e32 v84, 63, v68
	v_lshrrev_b32_e32 v85, 3, v68
	v_add_nc_u32_e32 v78, v68, v76
	ds_load_b64 v[70:71], v70 offset:512
	ds_load_b64 v[72:73], v72 offset:10648
	;; [unrolled: 1-line block ×3, first 2 shown]
	s_wait_dscnt 0x9
	v_mul_f32_e32 v90, v64, v51
	v_fma_f32 v89, v48, v46, -v79
	v_fmac_f32_e32 v47, v49, v46
	v_mul_f32_e32 v46, v65, v51
	s_wait_dscnt 0x6
	v_mul_f32_e32 v92, v60, v63
	v_fmac_f32_e32 v90, v65, v50
	v_mul_f32_e32 v65, v61, v63
	v_and_b32_e32 v83, 0x1f8, v83
	v_add_nc_u32_e32 v80, s8, v81
	v_fmac_f32_e32 v92, v61, v62
	v_add_nc_u32_e32 v82, s8, v82
	v_fma_f32 v65, v60, v62, -v65
	s_wait_dscnt 0x3
	v_mul_f32_e32 v62, v59, v67
	v_mul_f32_e32 v67, v58, v67
	v_lshl_add_u32 v81, v84, 3, 0
	v_and_b32_e32 v84, 0x1f8, v85
	v_lshrrev_b32_e32 v85, 9, v78
	v_lshrrev_b32_e32 v87, 3, v78
	v_add_nc_u32_e32 v51, s8, v83
	v_fma_f32 v62, v58, v66, -v62
	s_wait_dscnt 0x1
	v_dual_fmac_f32 v67, v59, v66 :: v_dual_mul_f32 v66, v73, v71
	v_dual_mul_f32 v71, v72, v71 :: v_dual_and_b32 v86, 63, v78
	v_add_nc_u32_e32 v88, v78, v76
	v_fma_f32 v91, v64, v50, -v46
	ds_load_b64 v[48:49], v82 offset:512
	ds_load_b64 v[50:51], v51 offset:1024
	;; [unrolled: 1-line block ×4, first 2 shown]
	v_and_b32_e32 v83, 0x1f8, v85
	v_and_b32_e32 v85, 0x1f8, v87
	v_fmac_f32_e32 v71, v73, v70
	v_add_nc_u32_e32 v79, s8, v84
	v_lshl_add_u32 v84, v86, 3, 0
	v_lshrrev_b32_e32 v86, 3, v88
	v_lshrrev_b32_e32 v87, 9, v88
	v_mul_f32_e32 v82, v47, v45
	v_mul_f32_e32 v93, v89, v45
	v_add_nc_u32_e32 v85, s8, v85
	ds_load_b64 v[45:46], v81 offset:10648
	ds_load_b64 v[79:80], v79 offset:512
	v_add_nc_u32_e32 v83, s8, v83
	v_and_b32_e32 v86, 0x1f8, v86
	v_fma_f32 v89, v44, v89, -v82
	ds_load_b64 v[60:61], v85 offset:512
	ds_load_b64 v[81:82], v84 offset:10648
	;; [unrolled: 1-line block ×3, first 2 shown]
	v_dual_mul_f32 v94, v90, v57 :: v_dual_and_b32 v87, 0x1f8, v87
	v_dual_fmac_f32 v93, v44, v47 :: v_dual_mul_f32 v44, v91, v57
	v_add_nc_u32_e32 v47, s8, v86
	s_delay_alu instid0(VALU_DEP_3)
	v_add_nc_u32_e32 v85, s8, v87
	v_mul_f32_e32 v87, v92, v53
	v_mul_f32_e32 v53, v65, v53
	v_fma_f32 v86, v56, v91, -v94
	v_fmac_f32_e32 v44, v56, v90
	ds_load_b64 v[56:57], v47 offset:512
	ds_load_b64 v[58:59], v85 offset:1024
	v_fma_f32 v47, v72, v70, -v66
	v_fma_f32 v65, v52, v65, -v87
	v_mul_f32_e32 v66, v67, v55
	v_mul_f32_e32 v55, v62, v55
	v_fmac_f32_e32 v53, v52, v92
	s_wait_dscnt 0x8
	v_mul_f32_e32 v52, v64, v49
	v_mul_f32_e32 v49, v63, v49
	v_fma_f32 v62, v54, v62, -v66
	v_dual_fmac_f32 v55, v54, v67 :: v_dual_mul_f32 v54, v71, v69
	s_delay_alu instid0(VALU_DEP_4) | instskip(NEXT) | instid1(VALU_DEP_4)
	v_fma_f32 v52, v63, v48, -v52
	v_fmac_f32_e32 v49, v64, v48
	s_wait_dscnt 0x5
	v_mul_f32_e32 v48, v46, v80
	v_dual_mul_f32 v63, v45, v80 :: v_dual_mul_f32 v66, v47, v69
	v_fma_f32 v47, v68, v47, -v54
	v_mul_f32_e32 v54, v49, v78
	s_delay_alu instid0(VALU_DEP_4) | instskip(NEXT) | instid1(VALU_DEP_4)
	v_fma_f32 v45, v45, v79, -v48
	v_fmac_f32_e32 v63, v46, v79
	s_wait_dscnt 0x3
	v_dual_mul_f32 v67, v52, v78 :: v_dual_mul_f32 v64, v82, v61
	v_fma_f32 v48, v77, v52, -v54
	s_delay_alu instid0(VALU_DEP_3) | instskip(SKIP_1) | instid1(VALU_DEP_4)
	v_dual_mul_f32 v61, v81, v61 :: v_dual_mul_f32 v52, v63, v51
	v_mul_f32_e32 v51, v45, v51
	v_fmac_f32_e32 v67, v77, v49
	v_fma_f32 v46, v81, v60, -v64
	v_fmac_f32_e32 v66, v68, v71
	v_fma_f32 v45, v50, v45, -v52
	v_fmac_f32_e32 v51, v50, v63
	v_fmac_f32_e32 v61, v82, v60
	s_wait_dscnt 0x2
	v_mul_f32_e32 v54, v46, v84
	s_delay_alu instid0(VALU_DEP_2) | instskip(NEXT) | instid1(VALU_DEP_2)
	v_mul_f32_e32 v60, v61, v84
	v_fmac_f32_e32 v54, v83, v61
	s_delay_alu instid0(VALU_DEP_2)
	v_fma_f32 v46, v83, v46, -v60
	s_wait_loadcnt 0x4
	v_mul_f32_e32 v49, v36, v18
	s_wait_loadcnt 0x3
	v_mul_f32_e32 v52, v16, v34
	v_mul_f32_e32 v50, v38, v20
	;; [unrolled: 1-line block ×4, first 2 shown]
	v_fmac_f32_e32 v49, v17, v35
	s_delay_alu instid0(VALU_DEP_4)
	v_dual_mul_f32 v61, v16, v33 :: v_dual_fmac_f32 v50, v37, v19
	s_wait_loadcnt 0x2
	v_dual_mul_f32 v64, v30, v12 :: v_dual_fmac_f32 v63, v13, v27
	v_fma_f32 v35, v36, v17, -v18
	s_wait_loadcnt 0x1
	v_dual_mul_f32 v69, v8, v26 :: v_dual_fmac_f32 v52, v15, v33
	s_delay_alu instid0(VALU_DEP_3) | instskip(SKIP_2) | instid1(VALU_DEP_4)
	v_fmac_f32_e32 v64, v29, v11
	v_mul_f32_e32 v68, v14, v27
	v_fma_f32 v15, v15, v34, -v61
	v_dual_mul_f32 v60, v40, v10 :: v_dual_fmac_f32 v69, v7, v25
	s_delay_alu instid0(VALU_DEP_4) | instskip(NEXT) | instid1(VALU_DEP_4)
	v_sub_f32_e32 v17, v63, v64
	v_fma_f32 v13, v13, v28, -v68
	v_mul_f32_e32 v70, v6, v4
	v_dual_mul_f32 v6, v6, v3 :: v_dual_add_f32 v61, v63, v64
	v_mul_f32_e32 v20, v37, v20
	s_wait_loadcnt 0x0
	v_dual_mul_f32 v14, v43, v24 :: v_dual_mul_f32 v77, 0xbf7d64f0, v17
	s_delay_alu instid0(VALU_DEP_3) | instskip(SKIP_2) | instid1(VALU_DEP_2)
	v_fma_f32 v34, v5, v4, -v6
	v_mul_f32_e32 v16, v32, v22
	v_fma_f32 v36, v38, v19, -v20
	v_fmac_f32_e32 v16, v31, v21
	v_mul_f32_e32 v10, v39, v10
	s_delay_alu instid0(VALU_DEP_1) | instskip(NEXT) | instid1(VALU_DEP_1)
	v_fma_f32 v37, v40, v9, -v10
	v_dual_mul_f32 v12, v29, v12 :: v_dual_sub_f32 v19, v15, v37
	v_add_f32_e32 v29, v15, v37
	v_fmac_f32_e32 v60, v39, v9
	s_delay_alu instid0(VALU_DEP_3) | instskip(SKIP_2) | instid1(VALU_DEP_4)
	v_fma_f32 v38, v30, v11, -v12
	v_sub_f32_e32 v9, v69, v16
	v_dual_mul_f32 v81, 0xbf4178ce, v19 :: v_dual_mul_f32 v24, v42, v24
	v_sub_f32_e32 v12, v52, v60
	v_mul_f32_e32 v8, v8, v25
	s_delay_alu instid0(VALU_DEP_4) | instskip(SKIP_4) | instid1(VALU_DEP_3)
	v_mul_f32_e32 v79, 0xbf68dda4, v9
	v_mul_f32_e32 v95, 0x3e903f40, v9
	v_fma_f32 v40, v43, v23, -v24
	v_dual_mul_f32 v73, 0xbf4178ce, v12 :: v_dual_mul_f32 v22, v31, v22
	v_add_f32_e32 v43, v52, v60
	v_dual_add_f32 v31, v13, v38 :: v_dual_sub_f32 v20, v34, v40
	v_fma_f32 v33, v7, v26, -v8
	s_delay_alu instid0(VALU_DEP_4) | instskip(SKIP_1) | instid1(VALU_DEP_4)
	v_fma_f32 v39, v32, v21, -v22
	v_sub_f32_e32 v21, v13, v38
	v_dual_fmac_f32 v70, v5, v3 :: v_dual_mul_f32 v27, 0xbf68dda4, v20
	v_fmac_f32_e32 v14, v42, v23
	v_fma_f32 v8, 0xbf27a4f4, v43, -v81
	s_delay_alu instid0(VALU_DEP_4) | instskip(SKIP_1) | instid1(VALU_DEP_4)
	v_mul_f32_e32 v85, 0x3e903f40, v21
	v_dual_mul_f32 v80, 0xbf7d64f0, v21 :: v_dual_add_f32 v25, v34, v40
	v_add_f32_e32 v71, v70, v14
	v_sub_f32_e32 v11, v49, v50
	v_dual_sub_f32 v10, v70, v14 :: v_dual_mul_f32 v99, 0x3f68dda4, v21
	s_delay_alu instid0(VALU_DEP_4) | instskip(SKIP_1) | instid1(VALU_DEP_4)
	v_fma_f32 v7, 0xbe11bafb, v61, -v80
	v_dual_add_f32 v32, v33, v39 :: v_dual_mul_f32 v87, 0x3f7d64f0, v12
	v_mul_f32_e32 v103, 0xbf4178ce, v11
	v_mul_f32_e32 v72, 0xbf0a6770, v20
	v_dual_mul_f32 v26, 0xbf0a6770, v10 :: v_dual_mul_f32 v109, 0xbf0a6770, v21
	v_dual_mul_f32 v83, 0xbe903f40, v11 :: v_dual_add_f32 v68, v69, v16
	v_mul_f32_e32 v105, 0x3f7d64f0, v9
	s_delay_alu instid0(VALU_DEP_4) | instskip(SKIP_4) | instid1(VALU_DEP_4)
	v_fma_f32 v3, 0x3f575c64, v71, -v72
	v_sub_f32_e32 v22, v33, v39
	v_fmamk_f32 v4, v25, 0x3f575c64, v26
	v_fmamk_f32 v6, v32, 0x3ed4b147, v79
	v_dual_add_f32 v42, v49, v50 :: v_dual_mul_f32 v101, 0xbf0a6770, v19
	v_dual_add_f32 v3, v3, v1 :: v_dual_mul_f32 v78, 0xbf68dda4, v22
	v_dual_sub_f32 v18, v35, v36 :: v_dual_mul_f32 v97, 0x3e903f40, v22
	v_add_f32_e32 v4, v4, v2
	v_fma_f32 v111, 0x3ed4b147, v71, -v27
	s_delay_alu instid0(VALU_DEP_4) | instskip(NEXT) | instid1(VALU_DEP_4)
	v_fma_f32 v5, 0x3ed4b147, v68, -v78
	v_mul_f32_e32 v82, 0xbe903f40, v18
	v_dual_add_f32 v30, v35, v36 :: v_dual_mul_f32 v91, 0x3f0a6770, v18
	s_delay_alu instid0(VALU_DEP_4) | instskip(NEXT) | instid1(VALU_DEP_4)
	v_add_f32_e32 v111, v111, v1
	v_add_f32_e32 v3, v5, v3
	v_dual_fmamk_f32 v5, v31, 0xbe11bafb, v77 :: v_dual_add_f32 v4, v6, v4
	v_fmamk_f32 v6, v29, 0xbf27a4f4, v73
	v_mul_f32_e32 v23, 0xbf68dda4, v10
	s_delay_alu instid0(VALU_DEP_4) | instskip(SKIP_3) | instid1(VALU_DEP_4)
	v_add_f32_e32 v3, v7, v3
	v_fma_f32 v7, 0xbf75a155, v42, -v82
	v_dual_add_f32 v4, v5, v4 :: v_dual_fmamk_f32 v5, v30, 0xbf75a155, v83
	v_fma_f32 v112, 0xbf75a155, v61, -v85
	v_dual_add_f32 v3, v8, v3 :: v_dual_fmamk_f32 v8, v25, 0x3ed4b147, v23
	s_delay_alu instid0(VALU_DEP_3) | instskip(SKIP_1) | instid1(VALU_DEP_3)
	v_add_f32_e32 v4, v6, v4
	v_dual_mul_f32 v90, 0x3f7d64f0, v19 :: v_dual_mul_f32 v107, 0x3f7d64f0, v22
	v_add_f32_e32 v6, v7, v3
	v_mul_f32_e32 v28, 0xbf4178ce, v22
	s_delay_alu instid0(VALU_DEP_4)
	v_add_f32_e32 v4, v5, v4
	v_mul_f32_e32 v92, 0x3f0a6770, v11
	v_fma_f32 v114, 0x3f575c64, v61, -v109
	v_mul_f32_e32 v5, v6, v93
	v_fma_f32 v3, 0xbf27a4f4, v68, -v28
	v_mul_f32_e32 v24, 0xbf4178ce, v9
	v_fmac_f32_e32 v109, 0x3f575c64, v61
	v_fma_f32 v23, 0x3ed4b147, v25, -v23
	s_delay_alu instid0(VALU_DEP_4)
	v_dual_fmac_f32 v78, 0x3ed4b147, v68 :: v_dual_add_f32 v111, v3, v111
	v_mul_f32_e32 v94, 0xbf7d64f0, v10
	v_fmamk_f32 v7, v32, 0xbf27a4f4, v24
	v_mul_f32_e32 v3, v4, v93
	v_fmamk_f32 v93, v29, 0xbe11bafb, v87
	v_dual_add_f32 v111, v112, v111 :: v_dual_mul_f32 v96, 0xbf7d64f0, v20
	v_add_f32_e32 v8, v8, v2
	v_mul_f32_e32 v84, 0x3e903f40, v17
	v_fma_f32 v4, v4, v89, -v5
	v_fmac_f32_e32 v3, v6, v89
	v_fma_f32 v89, 0xbe11bafb, v71, -v96
	v_add_f32_e32 v7, v7, v8
	v_fmamk_f32 v5, v31, 0xbf75a155, v84
	v_fma_f32 v8, 0xbe11bafb, v43, -v90
	v_mul_f32_e32 v98, 0x3f68dda4, v17
	v_dual_mul_f32 v100, 0xbf0a6770, v12 :: v_dual_add_f32 v89, v89, v1
	s_delay_alu instid0(VALU_DEP_4) | instskip(NEXT) | instid1(VALU_DEP_4)
	v_add_f32_e32 v5, v5, v7
	v_dual_fmamk_f32 v7, v25, 0xbe11bafb, v94 :: v_dual_add_f32 v8, v8, v111
	v_fma_f32 v111, 0xbf75a155, v68, -v97
	s_delay_alu instid0(VALU_DEP_3) | instskip(SKIP_1) | instid1(VALU_DEP_4)
	v_dual_mul_f32 v102, 0xbf4178ce, v18 :: v_dual_add_f32 v5, v93, v5
	v_mul_f32_e32 v104, 0xbf4178ce, v10
	v_dual_mul_f32 v106, 0xbf4178ce, v20 :: v_dual_add_f32 v7, v7, v2
	v_fmamk_f32 v93, v32, 0xbf75a155, v95
	v_add_f32_e32 v89, v111, v89
	v_fma_f32 v111, 0x3ed4b147, v61, -v99
	v_mul_f32_e32 v108, 0xbf0a6770, v17
	v_fma_f32 v112, 0x3f575c64, v42, -v91
	v_add_f32_e32 v7, v93, v7
	v_fma_f32 v93, 0x3f575c64, v43, -v101
	v_dual_add_f32 v89, v111, v89 :: v_dual_fmamk_f32 v6, v30, 0x3f575c64, v92
	v_fma_f32 v111, 0xbf27a4f4, v42, -v102
	v_mul_f32_e32 v17, 0xbf4178ce, v17
	v_fmac_f32_e32 v97, 0xbf75a155, v68
	s_delay_alu instid0(VALU_DEP_4) | instskip(SKIP_3) | instid1(VALU_DEP_4)
	v_add_f32_e32 v89, v93, v89
	v_dual_fmamk_f32 v93, v25, 0xbf27a4f4, v104 :: v_dual_add_f32 v8, v112, v8
	v_add_f32_e32 v6, v6, v5
	v_fmac_f32_e32 v99, 0x3ed4b147, v61
	v_add_f32_e32 v89, v111, v89
	s_delay_alu instid0(VALU_DEP_4) | instskip(SKIP_4) | instid1(VALU_DEP_4)
	v_add_f32_e32 v93, v93, v2
	v_mul_f32_e32 v113, v8, v44
	v_dual_mul_f32 v5, v6, v44 :: v_dual_fmamk_f32 v112, v31, 0x3ed4b147, v98
	v_fmac_f32_e32 v101, 0x3f575c64, v43
	v_fma_f32 v24, 0xbf27a4f4, v32, -v24
	v_fma_f32 v6, v6, v86, -v113
	s_delay_alu instid0(VALU_DEP_4) | instskip(SKIP_4) | instid1(VALU_DEP_4)
	v_fmac_f32_e32 v5, v8, v86
	v_fma_f32 v86, 0xbf27a4f4, v71, -v106
	v_dual_mul_f32 v110, 0xbe903f40, v12 :: v_dual_add_f32 v7, v112, v7
	v_fmamk_f32 v111, v31, 0x3f575c64, v108
	v_dual_fmamk_f32 v112, v30, 0xbf27a4f4, v103 :: v_dual_mul_f32 v113, v89, v53
	v_add_f32_e32 v86, v86, v1
	v_fmamk_f32 v8, v32, 0xbe11bafb, v105
	v_dual_fmamk_f32 v44, v29, 0x3f575c64, v100 :: v_dual_add_f32 v23, v23, v2
	v_mul_f32_e32 v12, 0x3f68dda4, v12
	v_fmac_f32_e32 v81, 0xbf27a4f4, v43
	s_delay_alu instid0(VALU_DEP_4) | instskip(NEXT) | instid1(VALU_DEP_4)
	v_add_f32_e32 v93, v8, v93
	v_add_f32_e32 v7, v44, v7
	v_fma_f32 v44, 0xbe11bafb, v68, -v107
	v_fmac_f32_e32 v107, 0xbe11bafb, v68
	v_add_f32_e32 v23, v24, v23
	s_delay_alu instid0(VALU_DEP_4) | instskip(NEXT) | instid1(VALU_DEP_4)
	v_dual_add_f32 v93, v111, v93 :: v_dual_add_f32 v112, v112, v7
	v_dual_fmamk_f32 v111, v29, 0xbf75a155, v110 :: v_dual_add_f32 v44, v44, v86
	v_mul_f32_e32 v86, 0x3f68dda4, v18
	v_fma_f32 v24, 0xbf75a155, v31, -v84
	s_delay_alu instid0(VALU_DEP_4) | instskip(SKIP_4) | instid1(VALU_DEP_4)
	v_mul_f32_e32 v7, v112, v53
	v_mul_f32_e32 v53, 0xbe903f40, v19
	v_fma_f32 v8, v112, v65, -v113
	v_dual_add_f32 v44, v114, v44 :: v_dual_add_f32 v93, v111, v93
	v_fma_f32 v111, 0x3ed4b147, v42, -v86
	v_fma_f32 v112, 0xbf75a155, v43, -v53
	v_mul_f32_e32 v113, 0xbe903f40, v10
	v_fmac_f32_e32 v7, v89, v65
	v_mul_f32_e32 v19, 0x3f68dda4, v19
	v_fmac_f32_e32 v106, 0xbf27a4f4, v71
	v_add_f32_e32 v44, v112, v44
	v_mul_f32_e32 v112, 0x3f68dda4, v11
	v_fmamk_f32 v65, v25, 0xbf75a155, v113
	v_fmac_f32_e32 v53, 0xbf75a155, v43
	s_delay_alu instid0(VALU_DEP_4) | instskip(NEXT) | instid1(VALU_DEP_4)
	v_dual_add_f32 v23, v24, v23 :: v_dual_add_f32 v44, v111, v44
	v_fmamk_f32 v111, v30, 0x3ed4b147, v112
	s_delay_alu instid0(VALU_DEP_4) | instskip(SKIP_1) | instid1(VALU_DEP_3)
	v_dual_mul_f32 v114, 0x3f0a6770, v9 :: v_dual_add_f32 v65, v65, v2
	v_fma_f32 v24, 0xbe11bafb, v29, -v87
	v_dual_fmac_f32 v27, 0x3ed4b147, v71 :: v_dual_add_f32 v10, v111, v93
	v_dual_mul_f32 v20, 0xbe903f40, v20 :: v_dual_mul_f32 v93, v44, v55
	v_fmac_f32_e32 v96, 0xbe11bafb, v71
	v_fma_f32 v111, 0x3f575c64, v32, -v114
	s_delay_alu instid0(VALU_DEP_4) | instskip(SKIP_3) | instid1(VALU_DEP_4)
	v_mul_f32_e32 v9, v10, v55
	v_fmamk_f32 v55, v32, 0x3f575c64, v114
	v_mul_f32_e32 v22, 0x3f0a6770, v22
	v_fma_f32 v89, 0xbf75a155, v71, -v20
	v_dual_fmac_f32 v20, 0xbf75a155, v71 :: v_dual_fmac_f32 v9, v44, v62
	s_delay_alu instid0(VALU_DEP_4) | instskip(NEXT) | instid1(VALU_DEP_4)
	v_add_f32_e32 v55, v55, v65
	v_fma_f32 v65, 0x3f575c64, v68, -v22
	s_delay_alu instid0(VALU_DEP_4) | instskip(NEXT) | instid1(VALU_DEP_4)
	v_dual_add_f32 v89, v89, v1 :: v_dual_fmac_f32 v22, 0x3f575c64, v68
	v_add_f32_e32 v20, v20, v1
	v_mul_f32_e32 v21, 0xbf4178ce, v21
	v_fma_f32 v44, 0xbe11bafb, v32, -v105
	s_delay_alu instid0(VALU_DEP_4) | instskip(NEXT) | instid1(VALU_DEP_4)
	v_add_f32_e32 v65, v65, v89
	v_dual_fmamk_f32 v89, v31, 0xbf27a4f4, v17 :: v_dual_add_f32 v20, v22, v20
	v_fma_f32 v10, v10, v62, -v93
	v_fmac_f32_e32 v86, 0x3ed4b147, v42
	s_delay_alu instid0(VALU_DEP_3) | instskip(SKIP_4) | instid1(VALU_DEP_4)
	v_dual_fmac_f32 v102, 0xbf27a4f4, v42 :: v_dual_add_f32 v55, v89, v55
	v_fma_f32 v89, 0xbf27a4f4, v61, -v21
	v_fmac_f32_e32 v21, 0xbf27a4f4, v61
	v_mul_f32_e32 v93, 0xbf7d64f0, v18
	v_fma_f32 v62, 0xbf75a155, v29, -v110
	v_dual_fmac_f32 v28, 0xbf27a4f4, v68 :: v_dual_add_f32 v65, v89, v65
	v_fmamk_f32 v89, v29, 0x3ed4b147, v12
	v_dual_add_f32 v20, v21, v20 :: v_dual_fmac_f32 v85, 0xbf75a155, v61
	v_fmac_f32_e32 v90, 0xbe11bafb, v43
	s_delay_alu instid0(VALU_DEP_3) | instskip(SKIP_3) | instid1(VALU_DEP_3)
	v_dual_fmac_f32 v80, 0xbe11bafb, v61 :: v_dual_add_f32 v55, v89, v55
	v_fma_f32 v89, 0x3ed4b147, v43, -v19
	v_fmac_f32_e32 v72, 0x3f575c64, v71
	v_fmac_f32_e32 v82, 0xbf75a155, v42
	v_dual_add_f32 v18, v89, v65 :: v_dual_mul_f32 v89, 0xbf7d64f0, v11
	v_fma_f32 v65, 0xbe11bafb, v42, -v93
	v_fmac_f32_e32 v93, 0xbe11bafb, v42
	s_delay_alu instid0(VALU_DEP_3) | instskip(NEXT) | instid1(VALU_DEP_3)
	v_fmamk_f32 v11, v30, 0xbe11bafb, v89
	v_add_f32_e32 v65, v65, v18
	v_fma_f32 v18, 0xbf75a155, v25, -v113
	s_delay_alu instid0(VALU_DEP_3) | instskip(NEXT) | instid1(VALU_DEP_2)
	v_add_f32_e32 v55, v11, v55
	v_dual_add_f32 v18, v18, v2 :: v_dual_and_b32 v11, 63, v88
	v_fma_f32 v113, 0xbf27a4f4, v31, -v17
	v_dual_mul_f32 v22, v65, v66 :: v_dual_fmac_f32 v19, 0x3ed4b147, v43
	s_delay_alu instid0(VALU_DEP_3) | instskip(NEXT) | instid1(VALU_DEP_4)
	v_lshl_add_u32 v11, v11, 3, 0
	v_add_f32_e32 v111, v111, v18
	s_delay_alu instid0(VALU_DEP_3)
	v_add_f32_e32 v19, v19, v20
	ds_load_b64 v[17:18], v11 offset:10648
	v_mul_f32_e32 v11, v55, v66
	v_fma_f32 v20, 0xbf27a4f4, v25, -v104
	v_fma_f32 v66, 0x3ed4b147, v29, -v12
	;; [unrolled: 1-line block ×3, first 2 shown]
	v_add_f32_e32 v111, v113, v111
	s_delay_alu instid0(VALU_DEP_4) | instskip(SKIP_2) | instid1(VALU_DEP_3)
	v_dual_fmac_f32 v11, v65, v47 :: v_dual_add_f32 v20, v20, v2
	v_add_f32_e32 v47, v106, v1
	v_add_f32_e32 v55, v93, v19
	v_dual_add_f32 v21, v66, v111 :: v_dual_add_f32 v20, v44, v20
	s_delay_alu instid0(VALU_DEP_3) | instskip(NEXT) | instid1(VALU_DEP_1)
	v_add_f32_e32 v44, v107, v47
	v_dual_mul_f32 v47, v55, v67 :: v_dual_add_f32 v44, v109, v44
	v_fma_f32 v22, 0xbe11bafb, v30, -v89
	s_delay_alu instid0(VALU_DEP_1) | instskip(SKIP_1) | instid1(VALU_DEP_1)
	v_add_f32_e32 v21, v22, v21
	v_fma_f32 v22, 0x3f575c64, v31, -v108
	v_dual_mul_f32 v19, v21, v67 :: v_dual_add_f32 v22, v22, v20
	v_fma_f32 v20, v21, v48, -v47
	v_add_f32_e32 v47, v96, v1
	s_delay_alu instid0(VALU_DEP_3) | instskip(NEXT) | instid1(VALU_DEP_4)
	v_fmac_f32_e32 v19, v55, v48
	v_dual_add_f32 v21, v62, v22 :: v_dual_add_f32 v22, v53, v44
	v_fma_f32 v44, 0xbe11bafb, v25, -v94
	v_fma_f32 v53, 0xbf75a155, v32, -v95
	;; [unrolled: 1-line block ×4, first 2 shown]
	v_add_f32_e32 v55, v86, v22
	v_add_f32_e32 v44, v44, v2
	;; [unrolled: 1-line block ×3, first 2 shown]
	v_fma_f32 v47, 0x3ed4b147, v31, -v98
	s_delay_alu instid0(VALU_DEP_4) | instskip(NEXT) | instid1(VALU_DEP_4)
	v_dual_add_f32 v21, v48, v21 :: v_dual_mul_f32 v48, v55, v51
	v_add_f32_e32 v44, v53, v44
	s_delay_alu instid0(VALU_DEP_4) | instskip(SKIP_1) | instid1(VALU_DEP_3)
	v_add_f32_e32 v22, v99, v22
	v_fma_f32 v31, 0xbe11bafb, v31, -v77
	v_add_f32_e32 v44, v47, v44
	v_fma_f32 v47, 0x3f575c64, v29, -v100
	s_delay_alu instid0(VALU_DEP_4)
	v_add_f32_e32 v53, v101, v22
	v_fma_f32 v22, v21, v45, -v48
	v_mul_f32_e32 v21, v21, v51
	s_wait_dscnt 0x0
	v_dual_mul_f32 v51, v17, v57 :: v_dual_add_f32 v44, v47, v44
	v_fma_f32 v47, 0xbf27a4f4, v30, -v103
	v_add_f32_e32 v48, v102, v53
	v_fmac_f32_e32 v21, v55, v45
	v_add_f32_e32 v53, v24, v23
	v_fmac_f32_e32 v51, v18, v56
	s_delay_alu instid0(VALU_DEP_4) | instskip(SKIP_2) | instid1(VALU_DEP_3)
	v_dual_add_f32 v44, v47, v44 :: v_dual_mul_f32 v45, v48, v54
	v_fma_f32 v47, 0x3f575c64, v30, -v92
	v_lshrrev_b32_e32 v55, 9, v41
	v_mul_f32_e32 v23, v44, v54
	v_fma_f32 v54, 0x3f575c64, v25, -v26
	v_fma_f32 v24, v44, v46, -v45
	v_mul_f32_e32 v44, v18, v57
	v_dual_add_f32 v45, v47, v53 :: v_dual_add_nc_u32 v18, v88, v76
	s_delay_alu instid0(VALU_DEP_4) | instskip(SKIP_1) | instid1(VALU_DEP_4)
	v_add_f32_e32 v54, v54, v2
	v_add_f32_e32 v2, v34, v2
	v_fma_f32 v44, v17, v56, -v44
	v_add_f32_e32 v17, v27, v1
	v_lshrrev_b32_e32 v27, 9, v18
	v_lshrrev_b32_e32 v53, 3, v18
	v_add_f32_e32 v2, v2, v33
	s_delay_alu instid0(VALU_DEP_4) | instskip(NEXT) | instid1(VALU_DEP_4)
	v_dual_add_f32 v17, v28, v17 :: v_dual_and_b32 v18, 63, v18
	v_and_b32_e32 v27, 0x1f8, v27
	s_delay_alu instid0(VALU_DEP_4) | instskip(NEXT) | instid1(VALU_DEP_4)
	v_and_b32_e32 v28, 0x1f8, v53
	v_add_f32_e32 v2, v2, v13
	v_lshrrev_b32_e32 v34, 3, v41
	v_add_f32_e32 v53, v85, v17
	v_add_nc_u32_e32 v17, s8, v27
	v_lshl_add_u32 v27, v18, 3, 0
	v_dual_add_f32 v15, v2, v15 :: v_dual_add_nc_u32 v28, s8, v28
	ds_load_b64 v[17:18], v17 offset:1024
	ds_load_b64 v[25:26], v27 offset:10648
	;; [unrolled: 1-line block ×3, first 2 shown]
	v_add_f32_e32 v15, v15, v35
	v_dual_mul_f32 v47, v51, v59 :: v_dual_add_f32 v32, v32, v54
	v_and_b32_e32 v54, 0x1f8, v55
	v_and_b32_e32 v33, 63, v41
	s_delay_alu instid0(VALU_DEP_4) | instskip(SKIP_2) | instid1(VALU_DEP_3)
	v_add_f32_e32 v15, v15, v36
	v_dual_add_f32 v41, v70, v1 :: v_dual_and_b32 v34, 0x1f8, v34
	v_dual_add_f32 v53, v90, v53 :: v_dual_mul_f32 v56, v44, v59
	v_add_f32_e32 v15, v15, v37
	v_fma_f32 v44, v58, v44, -v47
	v_fma_f32 v47, 0xbf27a4f4, v29, -v73
	v_dual_add_f32 v31, v31, v32 :: v_dual_add_nc_u32 v32, s8, v54
	s_delay_alu instid0(VALU_DEP_4)
	v_add_f32_e32 v15, v15, v38
	v_add_f32_e32 v1, v72, v1
	v_lshl_add_u32 v13, v33, 3, 0
	v_add_f32_e32 v41, v41, v69
	v_add_nc_u32_e32 v33, s8, v34
	v_add_f32_e32 v15, v15, v39
	v_dual_fmac_f32 v91, 0x3f575c64, v42 :: v_dual_fmac_f32 v56, v58, v51
	v_add_f32_e32 v47, v47, v31
	ds_load_b64 v[31:32], v32 offset:1024
	v_fmac_f32_e32 v23, v48, v46
	v_add_f32_e32 v53, v91, v53
	v_add_f32_e32 v46, v78, v1
	ds_load_b64 v[1:2], v13 offset:10648
	ds_load_b64 v[33:34], v33 offset:512
	v_add_f32_e32 v13, v41, v63
	s_wait_dscnt 0x3
	v_mul_f32_e32 v55, v26, v28
	v_mul_f32_e32 v51, v53, v56
	;; [unrolled: 1-line block ×3, first 2 shown]
	v_fma_f32 v54, 0xbf75a155, v30, -v83
	v_add_f32_e32 v13, v13, v52
	s_delay_alu instid0(VALU_DEP_4) | instskip(SKIP_2) | instid1(VALU_DEP_4)
	v_fma_f32 v30, v45, v44, -v51
	v_fma_f32 v45, v25, v27, -v55
	v_mul_f32_e32 v25, v25, v28
	v_dual_add_f32 v13, v13, v49 :: v_dual_add_f32 v28, v80, v46
	s_delay_alu instid0(VALU_DEP_2) | instskip(NEXT) | instid1(VALU_DEP_2)
	v_fmac_f32_e32 v25, v26, v27
	v_add_f32_e32 v13, v13, v50
	s_delay_alu instid0(VALU_DEP_3) | instskip(SKIP_1) | instid1(VALU_DEP_4)
	v_add_f32_e32 v26, v81, v28
	v_dual_mul_f32 v27, v45, v18 :: v_dual_add_f32 v28, v15, v40
	v_mul_f32_e32 v18, v25, v18
	s_delay_alu instid0(VALU_DEP_3) | instskip(SKIP_1) | instid1(VALU_DEP_4)
	v_dual_add_f32 v13, v13, v60 :: v_dual_add_f32 v36, v82, v26
	v_mul_hi_u32 v26, 0x21d9eae, v0
	v_fmac_f32_e32 v27, v17, v25
	s_delay_alu instid0(VALU_DEP_4) | instskip(SKIP_4) | instid1(VALU_DEP_3)
	v_fma_f32 v37, v17, v45, -v18
	s_wait_dscnt 0x0
	v_mul_f32_e32 v17, v2, v34
	v_mul_f32_e32 v25, v1, v34
	v_dual_add_f32 v13, v13, v64 :: v_dual_mul_f32 v18, v36, v27
	v_fma_f32 v17, v1, v33, -v17
	s_delay_alu instid0(VALU_DEP_2) | instskip(SKIP_2) | instid1(VALU_DEP_4)
	v_dual_fmac_f32 v25, v2, v33 :: v_dual_add_f32 v2, v13, v16
	v_mad_u32_u24 v38, 0x79, v26, v75
	v_mad_co_u64_u32 v[0:1], null, s2, v74, 0
	v_mul_f32_e32 v16, v17, v32
	s_delay_alu instid0(VALU_DEP_4) | instskip(NEXT) | instid1(VALU_DEP_4)
	v_add_f32_e32 v26, v2, v14
	v_mad_co_u64_u32 v[13:14], null, s0, v38, 0
	s_delay_alu instid0(VALU_DEP_3) | instskip(SKIP_2) | instid1(VALU_DEP_3)
	v_dual_mul_f32 v15, v25, v32 :: v_dual_fmac_f32 v16, v31, v25
	v_mad_co_u64_u32 v[1:2], null, s3, v74, v[1:2]
	v_fmac_f32_e32 v29, v53, v44
	v_fma_f32 v25, v31, v17, -v15
	s_delay_alu instid0(VALU_DEP_4) | instskip(SKIP_3) | instid1(VALU_DEP_3)
	v_mul_f32_e32 v31, v26, v16
	v_dual_mul_f32 v15, v28, v16 :: v_dual_mov_b32 v2, v14
	v_add_f32_e32 v44, v54, v47
	s_lshl_b64 s[2:3], s[6:7], 3
	v_fma_f32 v16, v28, v25, -v31
	s_delay_alu instid0(VALU_DEP_3)
	v_fmac_f32_e32 v15, v26, v25
	v_mad_co_u64_u32 v[25:26], null, s1, v38, v[2:3]
	v_add_nc_u32_e32 v28, 11, v38
	v_lshlrev_b64_e32 v[0:1], 3, v[0:1]
	v_mul_f32_e32 v17, v44, v27
	s_wait_alu 0xfffe
	s_add_nc_u64 s[2:3], s[14:15], s[2:3]
	v_add_nc_u32_e32 v41, 44, v38
	v_mad_co_u64_u32 v[26:27], null, s0, v28, 0
	v_mov_b32_e32 v14, v25
	s_wait_alu 0xfffe
	s_add_nc_u64 s[2:3], s[2:3], s[4:5]
	v_add_nc_u32_e32 v25, 22, v38
	s_wait_alu 0xfffe
	v_add_co_u32 v39, vcc_lo, s2, v0
	s_wait_alu 0xfffd
	v_add_co_ci_u32_e32 v40, vcc_lo, s3, v1, vcc_lo
	v_lshlrev_b64_e32 v[1:2], 3, v[13:14]
	v_mov_b32_e32 v0, v27
	v_mad_co_u64_u32 v[13:14], null, s0, v25, 0
	v_fma_f32 v18, v44, v37, -v18
	v_fmac_f32_e32 v17, v36, v37
	s_delay_alu instid0(VALU_DEP_4)
	v_mad_co_u64_u32 v[27:28], null, s1, v28, v[0:1]
	v_add_nc_u32_e32 v28, 33, v38
	v_add_co_u32 v0, vcc_lo, v39, v1
	s_wait_alu 0xfffd
	v_add_co_ci_u32_e32 v1, vcc_lo, v40, v2, vcc_lo
	v_mov_b32_e32 v2, v14
	v_mad_co_u64_u32 v[31:32], null, s0, v28, 0
	global_store_b64 v[0:1], v[15:16], off
	v_lshlrev_b64_e32 v[0:1], 3, v[26:27]
	v_mad_co_u64_u32 v[33:34], null, s1, v25, v[2:3]
	v_mad_co_u64_u32 v[34:35], null, s0, v41, 0
	v_mov_b32_e32 v2, v32
	s_delay_alu instid0(VALU_DEP_4) | instskip(SKIP_2) | instid1(VALU_DEP_3)
	v_add_co_u32 v0, vcc_lo, v39, v0
	s_wait_alu 0xfffd
	v_add_co_ci_u32_e32 v1, vcc_lo, v40, v1, vcc_lo
	v_mad_co_u64_u32 v[15:16], null, s1, v28, v[2:3]
	v_mov_b32_e32 v2, v35
	v_add_nc_u32_e32 v16, 55, v38
	v_mov_b32_e32 v14, v33
	global_store_b64 v[0:1], v[17:18], off
	v_add_nc_u32_e32 v28, 0x63, v38
	v_mad_co_u64_u32 v[25:26], null, s1, v41, v[2:3]
	v_mad_co_u64_u32 v[26:27], null, s0, v16, 0
	v_mov_b32_e32 v32, v15
	v_lshlrev_b64_e32 v[13:14], 3, v[13:14]
	s_delay_alu instid0(VALU_DEP_4) | instskip(NEXT) | instid1(VALU_DEP_3)
	v_mov_b32_e32 v35, v25
	v_lshlrev_b64_e32 v[1:2], 3, v[31:32]
	v_mov_b32_e32 v0, v27
	s_delay_alu instid0(VALU_DEP_4) | instskip(SKIP_2) | instid1(VALU_DEP_3)
	v_add_co_u32 v13, vcc_lo, v39, v13
	s_wait_alu 0xfffd
	v_add_co_ci_u32_e32 v14, vcc_lo, v40, v14, vcc_lo
	v_mad_co_u64_u32 v[15:16], null, s1, v16, v[0:1]
	v_add_nc_u32_e32 v25, 0x42, v38
	global_store_b64 v[13:14], v[29:30], off
	v_lshlrev_b64_e32 v[13:14], 3, v[34:35]
	v_add_co_u32 v0, vcc_lo, v39, v1
	s_wait_alu 0xfffd
	v_add_co_ci_u32_e32 v1, vcc_lo, v40, v2, vcc_lo
	v_mov_b32_e32 v27, v15
	v_mad_co_u64_u32 v[15:16], null, s0, v25, 0
	v_add_co_u32 v13, vcc_lo, v39, v13
	s_wait_alu 0xfffd
	v_add_co_ci_u32_e32 v14, vcc_lo, v40, v14, vcc_lo
	global_store_b64 v[0:1], v[23:24], off
	v_add_nc_u32_e32 v23, 0x4d, v38
	v_lshlrev_b64_e32 v[0:1], 3, v[26:27]
	v_add_nc_u32_e32 v26, 0x58, v38
	v_mov_b32_e32 v2, v16
	global_store_b64 v[13:14], v[21:22], off
	v_mad_co_u64_u32 v[13:14], null, s0, v23, 0
	v_mad_co_u64_u32 v[17:18], null, s0, v26, 0
	;; [unrolled: 1-line block ×3, first 2 shown]
	v_add_co_u32 v0, vcc_lo, v39, v0
	s_delay_alu instid0(VALU_DEP_4) | instskip(NEXT) | instid1(VALU_DEP_4)
	v_mad_co_u64_u32 v[22:23], null, s1, v23, v[14:15]
	v_mov_b32_e32 v2, v18
	v_mad_co_u64_u32 v[23:24], null, s0, v28, 0
	v_add_nc_u32_e32 v29, 0x6e, v38
	s_wait_alu 0xfffd
	v_add_co_ci_u32_e32 v1, vcc_lo, v40, v1, vcc_lo
	v_mov_b32_e32 v16, v21
	v_mad_co_u64_u32 v[25:26], null, s1, v26, v[2:3]
	v_mad_co_u64_u32 v[26:27], null, s0, v29, 0
	global_store_b64 v[0:1], v[19:20], off
	v_lshlrev_b64_e32 v[1:2], 3, v[15:16]
	v_mov_b32_e32 v0, v24
	v_mov_b32_e32 v14, v22
	;; [unrolled: 1-line block ×3, first 2 shown]
	s_delay_alu instid0(VALU_DEP_3)
	v_mad_co_u64_u32 v[15:16], null, s1, v28, v[0:1]
	v_mov_b32_e32 v0, v27
	v_add_co_u32 v1, vcc_lo, v39, v1
	v_lshlrev_b64_e32 v[13:14], 3, v[13:14]
	v_lshlrev_b64_e32 v[16:17], 3, v[17:18]
	s_wait_alu 0xfffd
	v_add_co_ci_u32_e32 v2, vcc_lo, v40, v2, vcc_lo
	v_mad_co_u64_u32 v[19:20], null, s1, v29, v[0:1]
	v_mov_b32_e32 v24, v15
	v_add_co_u32 v13, vcc_lo, v39, v13
	s_wait_alu 0xfffd
	v_add_co_ci_u32_e32 v14, vcc_lo, v40, v14, vcc_lo
	s_delay_alu instid0(VALU_DEP_3) | instskip(SKIP_4) | instid1(VALU_DEP_3)
	v_lshlrev_b64_e32 v[20:21], 3, v[23:24]
	v_mov_b32_e32 v27, v19
	v_add_co_u32 v15, vcc_lo, v39, v16
	s_wait_alu 0xfffd
	v_add_co_ci_u32_e32 v16, vcc_lo, v40, v17, vcc_lo
	v_lshlrev_b64_e32 v[17:18], 3, v[26:27]
	v_add_co_u32 v19, vcc_lo, v39, v20
	s_wait_alu 0xfffd
	v_add_co_ci_u32_e32 v20, vcc_lo, v40, v21, vcc_lo
	s_delay_alu instid0(VALU_DEP_3)
	v_add_co_u32 v17, vcc_lo, v39, v17
	s_wait_alu 0xfffd
	v_add_co_ci_u32_e32 v18, vcc_lo, v40, v18, vcc_lo
	s_clause 0x4
	global_store_b64 v[1:2], v[11:12], off
	global_store_b64 v[13:14], v[9:10], off
	;; [unrolled: 1-line block ×5, first 2 shown]
.LBB0_19:
	s_nop 0
	s_sendmsg sendmsg(MSG_DEALLOC_VGPRS)
	s_endpgm
	.section	.rodata,"a",@progbits
	.p2align	6, 0x0
	.amdhsa_kernel fft_rtc_back_len121_factors_11_11_wgs_121_tpt_11_sp_op_CI_CI_sbcc_twdbase6_3step_dirReg
		.amdhsa_group_segment_fixed_size 0
		.amdhsa_private_segment_fixed_size 0
		.amdhsa_kernarg_size 112
		.amdhsa_user_sgpr_count 2
		.amdhsa_user_sgpr_dispatch_ptr 0
		.amdhsa_user_sgpr_queue_ptr 0
		.amdhsa_user_sgpr_kernarg_segment_ptr 1
		.amdhsa_user_sgpr_dispatch_id 0
		.amdhsa_user_sgpr_private_segment_size 0
		.amdhsa_wavefront_size32 1
		.amdhsa_uses_dynamic_stack 0
		.amdhsa_enable_private_segment 0
		.amdhsa_system_sgpr_workgroup_id_x 1
		.amdhsa_system_sgpr_workgroup_id_y 0
		.amdhsa_system_sgpr_workgroup_id_z 0
		.amdhsa_system_sgpr_workgroup_info 0
		.amdhsa_system_vgpr_workitem_id 0
		.amdhsa_next_free_vgpr 115
		.amdhsa_next_free_sgpr 61
		.amdhsa_reserve_vcc 1
		.amdhsa_float_round_mode_32 0
		.amdhsa_float_round_mode_16_64 0
		.amdhsa_float_denorm_mode_32 3
		.amdhsa_float_denorm_mode_16_64 3
		.amdhsa_fp16_overflow 0
		.amdhsa_workgroup_processor_mode 1
		.amdhsa_memory_ordered 1
		.amdhsa_forward_progress 0
		.amdhsa_round_robin_scheduling 0
		.amdhsa_exception_fp_ieee_invalid_op 0
		.amdhsa_exception_fp_denorm_src 0
		.amdhsa_exception_fp_ieee_div_zero 0
		.amdhsa_exception_fp_ieee_overflow 0
		.amdhsa_exception_fp_ieee_underflow 0
		.amdhsa_exception_fp_ieee_inexact 0
		.amdhsa_exception_int_div_zero 0
	.end_amdhsa_kernel
	.text
.Lfunc_end0:
	.size	fft_rtc_back_len121_factors_11_11_wgs_121_tpt_11_sp_op_CI_CI_sbcc_twdbase6_3step_dirReg, .Lfunc_end0-fft_rtc_back_len121_factors_11_11_wgs_121_tpt_11_sp_op_CI_CI_sbcc_twdbase6_3step_dirReg
                                        ; -- End function
	.section	.AMDGPU.csdata,"",@progbits
; Kernel info:
; codeLenInByte = 9980
; NumSgprs: 63
; NumVgprs: 115
; ScratchSize: 0
; MemoryBound: 0
; FloatMode: 240
; IeeeMode: 1
; LDSByteSize: 0 bytes/workgroup (compile time only)
; SGPRBlocks: 7
; VGPRBlocks: 14
; NumSGPRsForWavesPerEU: 63
; NumVGPRsForWavesPerEU: 115
; Occupancy: 12
; WaveLimiterHint : 1
; COMPUTE_PGM_RSRC2:SCRATCH_EN: 0
; COMPUTE_PGM_RSRC2:USER_SGPR: 2
; COMPUTE_PGM_RSRC2:TRAP_HANDLER: 0
; COMPUTE_PGM_RSRC2:TGID_X_EN: 1
; COMPUTE_PGM_RSRC2:TGID_Y_EN: 0
; COMPUTE_PGM_RSRC2:TGID_Z_EN: 0
; COMPUTE_PGM_RSRC2:TIDIG_COMP_CNT: 0
	.text
	.p2alignl 7, 3214868480
	.fill 96, 4, 3214868480
	.type	__hip_cuid_80e345b6d5803e30,@object ; @__hip_cuid_80e345b6d5803e30
	.section	.bss,"aw",@nobits
	.globl	__hip_cuid_80e345b6d5803e30
__hip_cuid_80e345b6d5803e30:
	.byte	0                               ; 0x0
	.size	__hip_cuid_80e345b6d5803e30, 1

	.ident	"AMD clang version 19.0.0git (https://github.com/RadeonOpenCompute/llvm-project roc-6.4.0 25133 c7fe45cf4b819c5991fe208aaa96edf142730f1d)"
	.section	".note.GNU-stack","",@progbits
	.addrsig
	.addrsig_sym __hip_cuid_80e345b6d5803e30
	.amdgpu_metadata
---
amdhsa.kernels:
  - .args:
      - .actual_access:  read_only
        .address_space:  global
        .offset:         0
        .size:           8
        .value_kind:     global_buffer
      - .address_space:  global
        .offset:         8
        .size:           8
        .value_kind:     global_buffer
      - .offset:         16
        .size:           8
        .value_kind:     by_value
      - .actual_access:  read_only
        .address_space:  global
        .offset:         24
        .size:           8
        .value_kind:     global_buffer
      - .actual_access:  read_only
        .address_space:  global
        .offset:         32
        .size:           8
        .value_kind:     global_buffer
      - .actual_access:  read_only
        .address_space:  global
        .offset:         40
        .size:           8
        .value_kind:     global_buffer
      - .offset:         48
        .size:           8
        .value_kind:     by_value
      - .actual_access:  read_only
        .address_space:  global
        .offset:         56
        .size:           8
        .value_kind:     global_buffer
      - .actual_access:  read_only
        .address_space:  global
        .offset:         64
        .size:           8
        .value_kind:     global_buffer
      - .offset:         72
        .size:           4
        .value_kind:     by_value
      - .actual_access:  read_only
        .address_space:  global
        .offset:         80
        .size:           8
        .value_kind:     global_buffer
      - .actual_access:  read_only
        .address_space:  global
        .offset:         88
        .size:           8
        .value_kind:     global_buffer
      - .actual_access:  read_only
        .address_space:  global
        .offset:         96
        .size:           8
        .value_kind:     global_buffer
      - .actual_access:  write_only
        .address_space:  global
        .offset:         104
        .size:           8
        .value_kind:     global_buffer
    .group_segment_fixed_size: 0
    .kernarg_segment_align: 8
    .kernarg_segment_size: 112
    .language:       OpenCL C
    .language_version:
      - 2
      - 0
    .max_flat_workgroup_size: 121
    .name:           fft_rtc_back_len121_factors_11_11_wgs_121_tpt_11_sp_op_CI_CI_sbcc_twdbase6_3step_dirReg
    .private_segment_fixed_size: 0
    .sgpr_count:     63
    .sgpr_spill_count: 0
    .symbol:         fft_rtc_back_len121_factors_11_11_wgs_121_tpt_11_sp_op_CI_CI_sbcc_twdbase6_3step_dirReg.kd
    .uniform_work_group_size: 1
    .uses_dynamic_stack: false
    .vgpr_count:     115
    .vgpr_spill_count: 0
    .wavefront_size: 32
    .workgroup_processor_mode: 1
amdhsa.target:   amdgcn-amd-amdhsa--gfx1201
amdhsa.version:
  - 1
  - 2
...

	.end_amdgpu_metadata
